;; amdgpu-corpus repo=ROCm/rocBLAS kind=compiled arch=gfx1250 opt=O3
	.amdgcn_target "amdgcn-amd-amdhsa--gfx1250"
	.amdhsa_code_object_version 6
	.section	.text._ZL19rocblas_spmv_kernelILi64ELi16EPKfS1_PfEvbiT1_lT2_llS4_lllS3_lT3_llli,"axG",@progbits,_ZL19rocblas_spmv_kernelILi64ELi16EPKfS1_PfEvbiT1_lT2_llS4_lllS3_lT3_llli,comdat
	.globl	_ZL19rocblas_spmv_kernelILi64ELi16EPKfS1_PfEvbiT1_lT2_llS4_lllS3_lT3_llli ; -- Begin function _ZL19rocblas_spmv_kernelILi64ELi16EPKfS1_PfEvbiT1_lT2_llS4_lllS3_lT3_llli
	.p2align	8
	.type	_ZL19rocblas_spmv_kernelILi64ELi16EPKfS1_PfEvbiT1_lT2_llS4_lllS3_lT3_llli,@function
_ZL19rocblas_spmv_kernelILi64ELi16EPKfS1_PfEvbiT1_lT2_llS4_lllS3_lT3_llli: ; @_ZL19rocblas_spmv_kernelILi64ELi16EPKfS1_PfEvbiT1_lT2_llS4_lllS3_lT3_llli
; %bb.0:
	s_load_b64 s[2:3], s[0:1], 0x94
	s_wait_kmcnt 0x0
	s_lshr_b32 s4, s2, 16
	s_and_b32 s30, s2, 0xffff
	s_and_b32 s2, s3, 0xffff
	s_mul_i32 s3, s4, s30
	s_delay_alu instid0(SALU_CYCLE_1) | instskip(NEXT) | instid1(SALU_CYCLE_1)
	s_mul_i32 s3, s3, s2
	s_cmp_lg_u32 s3, 0x400
	s_cbranch_scc1 .LBB0_31
; %bb.1:
	s_load_b32 s33, s[0:1], 0x80
	s_bfe_u32 s2, ttmp6, 0x40014
	s_lshr_b32 s3, ttmp7, 16
	s_add_co_i32 s2, s2, 1
	s_bfe_u32 s4, ttmp6, 0x40008
	s_mul_i32 s2, s3, s2
	s_getreg_b32 s31, hwreg(HW_REG_IB_STS2, 6, 4)
	s_add_co_i32 s4, s4, s2
	s_cmp_eq_u32 s31, 0
	s_mov_b32 s29, 0
	s_cselect_b32 s28, s3, s4
	s_wait_kmcnt 0x0
	s_cmp_ge_u32 s28, s33
	s_cbranch_scc1 .LBB0_31
; %bb.2:
	s_clause 0x4
	s_load_b128 s[20:23], s[0:1], 0x20
	s_load_b256 s[4:11], s[0:1], 0x58
	s_load_b64 s[2:3], s[0:1], 0x0
	s_load_b128 s[24:27], s[0:1], 0x8
	s_load_b256 s[12:19], s[0:1], 0x38
	v_and_b32_e32 v1, 0x3ff, v0
	v_bfe_u32 v0, v0, 10, 10
	s_delay_alu instid0(VALU_DEP_1) | instskip(NEXT) | instid1(VALU_DEP_1)
	v_mad_u32_u24 v8, v0, s30, v1
	v_dual_lshrrev_b32 v0, 6, v8 :: v_dual_lshlrev_b32 v15, 2, v8
	v_cmp_gt_u32_e32 vcc_lo, 64, v8
	s_wait_kmcnt 0x0
	s_lshl_b64 s[20:21], s[20:21], 2
	s_lshl_b64 s[36:37], s[8:9], 2
	s_bitcmp1_b32 s2, 0
	s_add_nc_u64 s[6:7], s[6:7], s[36:37]
	s_cselect_b32 s34, -1, 0
	s_bfe_u32 s2, ttmp6, 0x4000c
	s_and_b32 s8, ttmp6, 15
	s_add_co_i32 s2, s2, 1
	s_xor_b32 s35, s34, -1
	s_mul_i32 s2, ttmp9, s2
	s_delay_alu instid0(SALU_CYCLE_1)
	s_add_co_i32 s8, s8, s2
	s_cmp_eq_u32 s31, 0
	s_load_b64 s[30:31], s[0:1], 0x18
	s_cselect_b32 s2, ttmp9, s8
	s_clause 0x1
	s_load_b64 s[38:39], s[0:1], 0x30
	s_load_b64 s[8:9], s[0:1], 0x78
	s_lshl_b32 s2, s2, 6
	s_delay_alu instid0(SALU_CYCLE_1) | instskip(SKIP_3) | instid1(VALU_DEP_2)
	v_dual_mov_b32 v1, 0 :: v_dual_add_nc_u32 v4, s2, v8
	v_and_or_b32 v14, v8, 63, s2
	s_lshl_b64 s[12:13], s[12:13], 2
	s_lshl_b64 s[16:17], s[16:17], 2
	v_mul_u64_e32 v[6:7], s[14:15], v[0:1]
	v_ashrrev_i32_e32 v5, 31, v4
	s_wait_xcnt 0x0
	v_cmp_gt_i32_e64 s0, s3, v4
	v_cmp_gt_i32_e64 s1, s3, v14
	s_lshl_b64 s[14:15], s[14:15], 6
	v_mul_u64_e32 v[2:3], s[10:11], v[4:5]
	s_and_b32 s36, vcc_lo, s0
	v_cmp_gt_i32_e64 s0, s3, v0
	s_wait_kmcnt 0x0
	s_add_nc_u64 s[10:11], s[30:31], s[20:21]
	s_add_nc_u64 s[12:13], s[38:39], s[12:13]
	s_mov_b32 s20, s3
	s_mov_b32 s21, s29
	s_delay_alu instid0(SALU_CYCLE_1)
	s_lshl_b64 s[20:21], s[20:21], 1
	v_lshl_add_u64 v[4:5], v[6:7], 2, s[12:13]
	s_or_b64 s[12:13], s[20:21], 1
	s_branch .LBB0_5
.LBB0_3:                                ;   in Loop: Header=BB0_5 Depth=1
	s_wait_xcnt 0x0
	s_or_b32 exec_lo, exec_lo, s2
.LBB0_4:                                ;   in Loop: Header=BB0_5 Depth=1
	s_add_co_i32 s28, s28, 0x10000
	s_delay_alu instid0(SALU_CYCLE_1)
	s_cmp_lt_u32 s28, s33
	s_cbranch_scc0 .LBB0_31
.LBB0_5:                                ; =>This Loop Header: Depth=1
                                        ;     Child Loop BB0_18 Depth 2
	s_wait_xcnt 0x1
	s_mul_u64 s[20:21], s[26:27], s[28:29]
	s_wait_xcnt 0x0
	s_mul_u64 s[30:31], s[4:5], s[28:29]
	s_lshl_b64 s[20:21], s[20:21], 2
	s_lshl_b64 s[30:31], s[30:31], 2
	s_add_nc_u64 s[20:21], s[24:25], s[20:21]
	s_add_nc_u64 s[30:31], s[18:19], s[30:31]
	s_clause 0x1
	global_load_b32 v16, v1, s[20:21]
	global_load_b32 v6, v1, s[30:31]
	s_wait_loadcnt 0x1
	v_cmp_eq_f32_e32 vcc_lo, 0, v16
	s_wait_loadcnt 0x0
	v_cmp_eq_f32_e64 s2, 1.0, v6
	v_readfirstlane_b32 s37, v6
	s_and_b32 s2, vcc_lo, s2
	s_delay_alu instid0(SALU_CYCLE_1)
	s_and_b32 vcc_lo, exec_lo, s2
	s_cbranch_vccnz .LBB0_4
; %bb.6:                                ;   in Loop: Header=BB0_5 Depth=1
	v_cmp_neq_f32_e32 vcc_lo, 0, v16
	s_wait_xcnt 0x1
	s_mul_u64 s[20:21], s[8:9], s[28:29]
	s_delay_alu instid0(SALU_CYCLE_1) | instskip(NEXT) | instid1(SALU_CYCLE_1)
	s_lshl_b64 s[20:21], s[20:21], 2
	s_add_nc_u64 s[20:21], s[6:7], s[20:21]
	s_cbranch_vccnz .LBB0_10
; %bb.7:                                ;   in Loop: Header=BB0_5 Depth=1
	s_mov_b32 s2, 0
	s_mov_b32 s38, 0
                                        ; implicit-def: $vgpr6
	s_wait_xcnt 0x0
	s_and_saveexec_b32 s30, s36
	s_cbranch_execz .LBB0_11
; %bb.8:                                ;   in Loop: Header=BB0_5 Depth=1
	s_cmp_eq_f32 s37, 0
	s_cbranch_scc1 .LBB0_12
; %bb.9:                                ;   in Loop: Header=BB0_5 Depth=1
	v_lshl_add_u64 v[6:7], v[2:3], 2, s[20:21]
	global_load_b32 v6, v[6:7], off
	s_wait_loadcnt 0x0
	s_wait_xcnt 0x0
	v_mul_f32_e32 v6, s37, v6
	s_branch .LBB0_13
.LBB0_10:                               ;   in Loop: Header=BB0_5 Depth=1
	s_mov_b32 s38, 0
                                        ; implicit-def: $vgpr6
	s_cbranch_execnz .LBB0_14
	s_branch .LBB0_29
.LBB0_11:                               ;   in Loop: Header=BB0_5 Depth=1
	s_or_b32 exec_lo, exec_lo, s30
	s_delay_alu instid0(SALU_CYCLE_1)
	s_and_b32 vcc_lo, exec_lo, s2
	s_cbranch_vccnz .LBB0_14
	s_branch .LBB0_29
.LBB0_12:                               ;   in Loop: Header=BB0_5 Depth=1
	v_mov_b32_e32 v6, 0
.LBB0_13:                               ;   in Loop: Header=BB0_5 Depth=1
	s_mov_b32 s38, exec_lo
	s_or_b32 exec_lo, exec_lo, s30
	s_delay_alu instid0(SALU_CYCLE_1)
	s_and_b32 vcc_lo, exec_lo, s2
	s_cbranch_vccz .LBB0_29
.LBB0_14:                               ;   in Loop: Header=BB0_5 Depth=1
	v_mov_b32_e32 v17, 0
	s_wait_xcnt 0x0
	s_and_saveexec_b32 s39, s0
	s_cbranch_execz .LBB0_24
; %bb.15:                               ;   in Loop: Header=BB0_5 Depth=1
	v_mad_nc_u64_u32 v[6:7], s16, s28, v[4:5]
	s_mul_u64 s[30:31], s[22:23], s[28:29]
	v_dual_mov_b32 v17, 0 :: v_dual_mov_b32 v18, v0
	s_lshl_b64 s[30:31], s[30:31], 2
	s_mov_b32 s40, 0
	s_add_nc_u64 s[30:31], s[10:11], s[30:31]
	s_delay_alu instid0(VALU_DEP_2)
	v_mad_u32 v7, s17, s28, v7
	s_branch .LBB0_18
.LBB0_16:                               ;   in Loop: Header=BB0_18 Depth=2
	s_delay_alu instid0(VALU_DEP_1) | instskip(NEXT) | instid1(VALU_DEP_2)
	v_mul_u64_e32 v[8:9], v[12:13], v[8:9]
	v_ashrrev_i32_e32 v11, 31, v10
	s_delay_alu instid0(VALU_DEP_2) | instskip(NEXT) | instid1(VALU_DEP_1)
	v_lshlrev_b64_e32 v[8:9], 1, v[8:9]
	v_and_b32_e32 v8, -4, v8
	s_delay_alu instid0(VALU_DEP_1) | instskip(NEXT) | instid1(VALU_DEP_1)
	v_add_nc_u64_e32 v[8:9], s[30:31], v[8:9]
	v_lshl_add_u64 v[8:9], v[10:11], 2, v[8:9]
	global_load_b32 v10, v[8:9], off
	global_load_b32 v11, v[6:7], off
	s_wait_loadcnt 0x0
	v_fmac_f32_e32 v17, v10, v11
.LBB0_17:                               ;   in Loop: Header=BB0_18 Depth=2
	s_wait_xcnt 0x0
	s_or_b32 exec_lo, exec_lo, s41
	v_add_nc_u32_e32 v18, 16, v18
	s_delay_alu instid0(VALU_DEP_2) | instskip(NEXT) | instid1(VALU_DEP_2)
	v_add_nc_u64_e32 v[6:7], s[14:15], v[6:7]
	v_cmp_le_i32_e32 vcc_lo, s3, v18
	s_or_b32 s40, vcc_lo, s40
	s_delay_alu instid0(SALU_CYCLE_1)
	s_and_not1_b32 exec_lo, exec_lo, s40
	s_cbranch_execz .LBB0_23
.LBB0_18:                               ;   Parent Loop BB0_5 Depth=1
                                        ; =>  This Inner Loop Header: Depth=2
	s_and_saveexec_b32 s41, s1
	s_cbranch_execz .LBB0_17
; %bb.19:                               ;   in Loop: Header=BB0_18 Depth=2
	v_cmp_le_i32_e32 vcc_lo, v14, v18
	v_cmp_ge_i32_e64 s2, v14, v18
                                        ; implicit-def: $vgpr12_vgpr13
                                        ; implicit-def: $vgpr10
	s_or_b32 s42, s35, vcc_lo
	s_or_b32 s2, s34, s2
	s_delay_alu instid0(SALU_CYCLE_1) | instskip(SKIP_4) | instid1(VALU_DEP_2)
	s_and_b32 vcc_lo, s42, s2
	s_mov_b32 s2, -1
	v_cndmask_b32_e32 v8, v14, v18, vcc_lo
	v_cndmask_b32_e32 v11, v18, v14, vcc_lo
	s_and_b32 vcc_lo, exec_lo, s35
	v_ashrrev_i32_e32 v9, 31, v8
	s_cbranch_vccz .LBB0_21
; %bb.20:                               ;   in Loop: Header=BB0_18 Depth=2
	s_delay_alu instid0(VALU_DEP_1)
	v_sub_nc_u64_e32 v[12:13], s[12:13], v[8:9]
	v_sub_nc_u32_e32 v10, v11, v8
	s_mov_b32 s2, 0
.LBB0_21:                               ;   in Loop: Header=BB0_18 Depth=2
	s_delay_alu instid0(SALU_CYCLE_1)
	s_and_not1_b32 vcc_lo, exec_lo, s2
	s_cbranch_vccnz .LBB0_16
; %bb.22:                               ;   in Loop: Header=BB0_18 Depth=2
	s_delay_alu instid0(VALU_DEP_1)
	v_add_nc_u64_e32 v[12:13], 1, v[8:9]
	v_mov_b32_e32 v10, v11
	s_branch .LBB0_16
.LBB0_23:                               ;   in Loop: Header=BB0_5 Depth=1
	s_or_b32 exec_lo, exec_lo, s40
.LBB0_24:                               ;   in Loop: Header=BB0_5 Depth=1
	s_delay_alu instid0(SALU_CYCLE_1)
	s_or_b32 exec_lo, exec_lo, s39
	ds_store_b32 v15, v17
	s_wait_dscnt 0x0
	s_barrier_signal -1
	s_barrier_wait -1
                                        ; implicit-def: $vgpr6
	s_and_saveexec_b32 s2, s36
	s_cbranch_execz .LBB0_28
; %bb.25:                               ;   in Loop: Header=BB0_5 Depth=1
	ds_load_2addr_stride64_b32 v[6:7], v15 offset1:1
	ds_load_2addr_stride64_b32 v[8:9], v15 offset0:2 offset1:3
	ds_load_2addr_stride64_b32 v[10:11], v15 offset0:4 offset1:5
	;; [unrolled: 1-line block ×3, first 2 shown]
	s_cmp_eq_f32 s37, 0
	s_wait_dscnt 0x3
	v_add_f32_e32 v6, v6, v7
	s_wait_dscnt 0x2
	s_delay_alu instid0(VALU_DEP_1) | instskip(NEXT) | instid1(VALU_DEP_1)
	v_add_f32_e32 v6, v8, v6
	v_add_f32_e32 v6, v9, v6
	s_wait_dscnt 0x1
	s_delay_alu instid0(VALU_DEP_1) | instskip(SKIP_3) | instid1(VALU_DEP_1)
	v_add_f32_e32 v8, v10, v6
	ds_load_2addr_stride64_b32 v[6:7], v15 offset0:8 offset1:9
	v_add_f32_e32 v8, v11, v8
	s_wait_dscnt 0x1
	v_add_f32_e32 v10, v12, v8
	ds_load_2addr_stride64_b32 v[8:9], v15 offset0:10 offset1:11
	v_add_f32_e32 v17, v13, v10
	ds_load_2addr_stride64_b32 v[10:11], v15 offset0:12 offset1:13
	ds_load_2addr_stride64_b32 v[12:13], v15 offset0:14 offset1:15
	s_wait_dscnt 0x3
	v_add_f32_e32 v6, v6, v17
	s_delay_alu instid0(VALU_DEP_1) | instskip(SKIP_1) | instid1(VALU_DEP_1)
	v_add_f32_e32 v6, v7, v6
	s_wait_dscnt 0x2
	v_add_f32_e32 v6, v8, v6
	s_delay_alu instid0(VALU_DEP_1) | instskip(SKIP_1) | instid1(VALU_DEP_1)
	v_add_f32_e32 v6, v9, v6
	;; [unrolled: 4-line block ×3, first 2 shown]
	s_wait_dscnt 0x0
	v_add_f32_e32 v6, v12, v6
	s_delay_alu instid0(VALU_DEP_1) | instskip(NEXT) | instid1(VALU_DEP_1)
	v_add_f32_e32 v7, v13, v6
	v_mul_f32_e32 v6, v16, v7
	ds_store_b32 v15, v7
	s_cbranch_scc1 .LBB0_27
; %bb.26:                               ;   in Loop: Header=BB0_5 Depth=1
	v_lshl_add_u64 v[8:9], v[2:3], 2, s[20:21]
	global_load_b32 v7, v[8:9], off
	s_wait_loadcnt 0x0
	v_fmac_f32_e32 v6, s37, v7
.LBB0_27:                               ;   in Loop: Header=BB0_5 Depth=1
	s_or_b32 s38, s38, exec_lo
.LBB0_28:                               ;   in Loop: Header=BB0_5 Depth=1
	s_wait_xcnt 0x0
	s_or_b32 exec_lo, exec_lo, s2
.LBB0_29:                               ;   in Loop: Header=BB0_5 Depth=1
	s_wait_xcnt 0x0
	s_and_saveexec_b32 s2, s38
	s_cbranch_execz .LBB0_3
; %bb.30:                               ;   in Loop: Header=BB0_5 Depth=1
	v_lshl_add_u64 v[8:9], v[2:3], 2, s[20:21]
	global_store_b32 v[8:9], v6, off
	s_branch .LBB0_3
.LBB0_31:
	s_endpgm
	.section	.rodata,"a",@progbits
	.p2align	6, 0x0
	.amdhsa_kernel _ZL19rocblas_spmv_kernelILi64ELi16EPKfS1_PfEvbiT1_lT2_llS4_lllS3_lT3_llli
		.amdhsa_group_segment_fixed_size 4096
		.amdhsa_private_segment_fixed_size 0
		.amdhsa_kernarg_size 392
		.amdhsa_user_sgpr_count 2
		.amdhsa_user_sgpr_dispatch_ptr 0
		.amdhsa_user_sgpr_queue_ptr 0
		.amdhsa_user_sgpr_kernarg_segment_ptr 1
		.amdhsa_user_sgpr_dispatch_id 0
		.amdhsa_user_sgpr_kernarg_preload_length 0
		.amdhsa_user_sgpr_kernarg_preload_offset 0
		.amdhsa_user_sgpr_private_segment_size 0
		.amdhsa_wavefront_size32 1
		.amdhsa_uses_dynamic_stack 0
		.amdhsa_enable_private_segment 0
		.amdhsa_system_sgpr_workgroup_id_x 1
		.amdhsa_system_sgpr_workgroup_id_y 0
		.amdhsa_system_sgpr_workgroup_id_z 1
		.amdhsa_system_sgpr_workgroup_info 0
		.amdhsa_system_vgpr_workitem_id 1
		.amdhsa_next_free_vgpr 19
		.amdhsa_next_free_sgpr 43
		.amdhsa_named_barrier_count 0
		.amdhsa_reserve_vcc 1
		.amdhsa_float_round_mode_32 0
		.amdhsa_float_round_mode_16_64 0
		.amdhsa_float_denorm_mode_32 3
		.amdhsa_float_denorm_mode_16_64 3
		.amdhsa_fp16_overflow 0
		.amdhsa_memory_ordered 1
		.amdhsa_forward_progress 1
		.amdhsa_inst_pref_size 11
		.amdhsa_round_robin_scheduling 0
		.amdhsa_exception_fp_ieee_invalid_op 0
		.amdhsa_exception_fp_denorm_src 0
		.amdhsa_exception_fp_ieee_div_zero 0
		.amdhsa_exception_fp_ieee_overflow 0
		.amdhsa_exception_fp_ieee_underflow 0
		.amdhsa_exception_fp_ieee_inexact 0
		.amdhsa_exception_int_div_zero 0
	.end_amdhsa_kernel
	.section	.text._ZL19rocblas_spmv_kernelILi64ELi16EPKfS1_PfEvbiT1_lT2_llS4_lllS3_lT3_llli,"axG",@progbits,_ZL19rocblas_spmv_kernelILi64ELi16EPKfS1_PfEvbiT1_lT2_llS4_lllS3_lT3_llli,comdat
.Lfunc_end0:
	.size	_ZL19rocblas_spmv_kernelILi64ELi16EPKfS1_PfEvbiT1_lT2_llS4_lllS3_lT3_llli, .Lfunc_end0-_ZL19rocblas_spmv_kernelILi64ELi16EPKfS1_PfEvbiT1_lT2_llS4_lllS3_lT3_llli
                                        ; -- End function
	.set _ZL19rocblas_spmv_kernelILi64ELi16EPKfS1_PfEvbiT1_lT2_llS4_lllS3_lT3_llli.num_vgpr, 19
	.set _ZL19rocblas_spmv_kernelILi64ELi16EPKfS1_PfEvbiT1_lT2_llS4_lllS3_lT3_llli.num_agpr, 0
	.set _ZL19rocblas_spmv_kernelILi64ELi16EPKfS1_PfEvbiT1_lT2_llS4_lllS3_lT3_llli.numbered_sgpr, 43
	.set _ZL19rocblas_spmv_kernelILi64ELi16EPKfS1_PfEvbiT1_lT2_llS4_lllS3_lT3_llli.num_named_barrier, 0
	.set _ZL19rocblas_spmv_kernelILi64ELi16EPKfS1_PfEvbiT1_lT2_llS4_lllS3_lT3_llli.private_seg_size, 0
	.set _ZL19rocblas_spmv_kernelILi64ELi16EPKfS1_PfEvbiT1_lT2_llS4_lllS3_lT3_llli.uses_vcc, 1
	.set _ZL19rocblas_spmv_kernelILi64ELi16EPKfS1_PfEvbiT1_lT2_llS4_lllS3_lT3_llli.uses_flat_scratch, 0
	.set _ZL19rocblas_spmv_kernelILi64ELi16EPKfS1_PfEvbiT1_lT2_llS4_lllS3_lT3_llli.has_dyn_sized_stack, 0
	.set _ZL19rocblas_spmv_kernelILi64ELi16EPKfS1_PfEvbiT1_lT2_llS4_lllS3_lT3_llli.has_recursion, 0
	.set _ZL19rocblas_spmv_kernelILi64ELi16EPKfS1_PfEvbiT1_lT2_llS4_lllS3_lT3_llli.has_indirect_call, 0
	.section	.AMDGPU.csdata,"",@progbits
; Kernel info:
; codeLenInByte = 1304
; TotalNumSgprs: 45
; NumVgprs: 19
; ScratchSize: 0
; MemoryBound: 0
; FloatMode: 240
; IeeeMode: 1
; LDSByteSize: 4096 bytes/workgroup (compile time only)
; SGPRBlocks: 0
; VGPRBlocks: 1
; NumSGPRsForWavesPerEU: 45
; NumVGPRsForWavesPerEU: 19
; NamedBarCnt: 0
; Occupancy: 16
; WaveLimiterHint : 1
; COMPUTE_PGM_RSRC2:SCRATCH_EN: 0
; COMPUTE_PGM_RSRC2:USER_SGPR: 2
; COMPUTE_PGM_RSRC2:TRAP_HANDLER: 0
; COMPUTE_PGM_RSRC2:TGID_X_EN: 1
; COMPUTE_PGM_RSRC2:TGID_Y_EN: 0
; COMPUTE_PGM_RSRC2:TGID_Z_EN: 1
; COMPUTE_PGM_RSRC2:TIDIG_COMP_CNT: 1
	.section	.text._ZL19rocblas_spmv_kernelILi64ELi16EfPKfPfEvbiT1_lT2_llS4_lllS3_lT3_llli,"axG",@progbits,_ZL19rocblas_spmv_kernelILi64ELi16EfPKfPfEvbiT1_lT2_llS4_lllS3_lT3_llli,comdat
	.globl	_ZL19rocblas_spmv_kernelILi64ELi16EfPKfPfEvbiT1_lT2_llS4_lllS3_lT3_llli ; -- Begin function _ZL19rocblas_spmv_kernelILi64ELi16EfPKfPfEvbiT1_lT2_llS4_lllS3_lT3_llli
	.p2align	8
	.type	_ZL19rocblas_spmv_kernelILi64ELi16EfPKfPfEvbiT1_lT2_llS4_lllS3_lT3_llli,@function
_ZL19rocblas_spmv_kernelILi64ELi16EfPKfPfEvbiT1_lT2_llS4_lllS3_lT3_llli: ; @_ZL19rocblas_spmv_kernelILi64ELi16EfPKfPfEvbiT1_lT2_llS4_lllS3_lT3_llli
; %bb.0:
	s_load_b64 s[2:3], s[0:1], 0x94
	s_wait_kmcnt 0x0
	s_lshr_b32 s4, s2, 16
	s_and_b32 s2, s2, 0xffff
	s_and_b32 s3, s3, 0xffff
	s_mul_i32 s4, s4, s2
	s_delay_alu instid0(SALU_CYCLE_1) | instskip(NEXT) | instid1(SALU_CYCLE_1)
	s_mul_i32 s4, s4, s3
	s_cmp_lg_u32 s4, 0x400
	s_cbranch_scc1 .LBB1_31
; %bb.1:
	s_load_b32 s3, s[0:1], 0x80
	s_bfe_u32 s4, ttmp6, 0x40014
	s_lshr_b32 s5, ttmp7, 16
	s_add_co_i32 s4, s4, 1
	s_bfe_u32 s6, ttmp6, 0x40008
	s_mul_i32 s4, s5, s4
	s_getreg_b32 s26, hwreg(HW_REG_IB_STS2, 6, 4)
	s_add_co_i32 s6, s6, s4
	s_cmp_eq_u32 s26, 0
	s_mov_b32 s25, 0
	s_cselect_b32 s24, s5, s6
	s_wait_kmcnt 0x0
	s_cmp_ge_u32 s24, s3
	s_cbranch_scc1 .LBB1_31
; %bb.2:
	s_clause 0x5
	s_load_b128 s[4:7], s[0:1], 0x20
	s_load_b128 s[8:11], s[0:1], 0x68
	s_load_b96 s[16:18], s[0:1], 0x0
	s_load_b96 s[20:22], s[0:1], 0x48
	s_load_b128 s[12:15], s[0:1], 0x38
	s_load_b64 s[36:37], s[0:1], 0x30
	v_and_b32_e32 v1, 0x3ff, v0
	v_bfe_u32 v0, v0, 10, 10
	s_delay_alu instid0(VALU_DEP_1) | instskip(NEXT) | instid1(VALU_DEP_1)
	v_mad_u32_u24 v8, v0, s2, v1
	v_dual_mov_b32 v1, 0 :: v_dual_lshrrev_b32 v0, 6, v8
	v_cmp_gt_u32_e32 vcc_lo, 64, v8
	v_lshlrev_b32_e32 v14, 2, v8
	s_wait_kmcnt 0x0
	s_lshl_b64 s[28:29], s[4:5], 2
	s_lshl_b64 s[34:35], s[8:9], 2
	s_bitcmp1_b32 s16, 0
	s_cselect_b32 s16, -1, 0
	v_mul_u64_e32 v[6:7], s[14:15], v[0:1]
	s_xor_b32 s19, s16, -1
	s_cmp_eq_f32 s18, 0
	s_cselect_b32 s23, -1, 0
	s_cmp_neq_f32 s18, 0
	s_cselect_b32 s4, -1, 0
	s_cmp_neq_f32 s22, 1.0
	s_cselect_b32 s5, -1, 0
	s_bfe_u32 s8, ttmp6, 0x4000c
	s_and_b32 s2, ttmp6, 15
	s_add_co_i32 s8, s8, 1
	s_or_b32 s30, s4, s5
	s_mul_i32 s8, ttmp9, s8
	s_load_b64 s[4:5], s[0:1], 0x78
	s_add_co_i32 s2, s2, s8
	s_cmp_eq_u32 s26, 0
	s_clause 0x1
	s_load_b64 s[8:9], s[0:1], 0x18
	s_load_b64 s[26:27], s[0:1], 0x60
	s_cselect_b32 s2, ttmp9, s2
	s_wait_xcnt 0x0
	v_cmp_gt_i32_e64 s0, s17, v0
	s_lshl_b32 s33, s2, 6
	s_delay_alu instid0(SALU_CYCLE_1) | instskip(SKIP_1) | instid1(VALU_DEP_2)
	v_add_nc_u32_e32 v4, s33, v8
	v_and_or_b32 v1, v8, 63, s33
	v_ashrrev_i32_e32 v5, 31, v4
	v_cmp_gt_i32_e64 s2, s17, v4
	s_delay_alu instid0(VALU_DEP_3) | instskip(NEXT) | instid1(VALU_DEP_3)
	v_cmp_gt_i32_e64 s1, s17, v1
	v_mul_u64_e32 v[2:3], s[10:11], v[4:5]
	s_and_b32 s31, vcc_lo, s2
	s_cmp_neq_f32 s22, 0
	s_wait_kmcnt 0x0
	s_add_nc_u64 s[8:9], s[8:9], s[28:29]
	s_add_nc_u64 s[10:11], s[26:27], s[34:35]
	s_cselect_b32 s33, -1, 0
	s_lshl_b64 s[12:13], s[12:13], 2
	s_mov_b32 s26, s17
	s_add_nc_u64 s[12:13], s[36:37], s[12:13]
	s_mov_b32 s27, s25
	v_lshl_add_u64 v[4:5], v[6:7], 2, s[12:13]
	s_lshl_b64 s[26:27], s[26:27], 1
	s_lshl_b64 s[20:21], s[20:21], 2
	s_or_b64 s[12:13], s[26:27], 1
	s_lshl_b64 s[14:15], s[14:15], 6
	s_branch .LBB1_5
.LBB1_3:                                ;   in Loop: Header=BB1_5 Depth=1
	s_wait_xcnt 0x0
	s_or_b32 exec_lo, exec_lo, s2
.LBB1_4:                                ;   in Loop: Header=BB1_5 Depth=1
	s_add_co_i32 s24, s24, 0x10000
	s_delay_alu instid0(SALU_CYCLE_1)
	s_cmp_lt_u32 s24, s3
	s_cbranch_scc0 .LBB1_31
.LBB1_5:                                ; =>This Loop Header: Depth=1
                                        ;     Child Loop BB1_18 Depth 2
	s_and_not1_b32 vcc_lo, exec_lo, s30
	s_cbranch_vccnz .LBB1_4
; %bb.6:                                ;   in Loop: Header=BB1_5 Depth=1
	s_mul_u64 s[26:27], s[4:5], s[24:25]
	s_and_not1_b32 vcc_lo, exec_lo, s23
	s_lshl_b64 s[26:27], s[26:27], 2
	s_delay_alu instid0(SALU_CYCLE_1)
	s_add_nc_u64 s[26:27], s[10:11], s[26:27]
	s_cbranch_vccnz .LBB1_10
; %bb.7:                                ;   in Loop: Header=BB1_5 Depth=1
	s_mov_b32 s2, 0
	s_mov_b32 s34, 0
                                        ; implicit-def: $vgpr6
	s_and_saveexec_b32 s28, s31
	s_cbranch_execz .LBB1_11
; %bb.8:                                ;   in Loop: Header=BB1_5 Depth=1
	s_and_not1_b32 vcc_lo, exec_lo, s33
	s_cbranch_vccnz .LBB1_12
; %bb.9:                                ;   in Loop: Header=BB1_5 Depth=1
	s_delay_alu instid0(VALU_DEP_2)
	v_lshl_add_u64 v[6:7], v[2:3], 2, s[26:27]
	global_load_b32 v6, v[6:7], off
	s_wait_loadcnt 0x0
	s_wait_xcnt 0x0
	v_mul_f32_e32 v6, s22, v6
	s_branch .LBB1_13
.LBB1_10:                               ;   in Loop: Header=BB1_5 Depth=1
	s_mov_b32 s34, 0
                                        ; implicit-def: $vgpr6
	s_cbranch_execnz .LBB1_14
	s_branch .LBB1_29
.LBB1_11:                               ;   in Loop: Header=BB1_5 Depth=1
	s_or_b32 exec_lo, exec_lo, s28
	s_delay_alu instid0(SALU_CYCLE_1)
	s_and_b32 vcc_lo, exec_lo, s2
	s_cbranch_vccnz .LBB1_14
	s_branch .LBB1_29
.LBB1_12:                               ;   in Loop: Header=BB1_5 Depth=1
	v_mov_b32_e32 v6, 0
.LBB1_13:                               ;   in Loop: Header=BB1_5 Depth=1
	s_mov_b32 s34, exec_lo
	s_or_b32 exec_lo, exec_lo, s28
	s_delay_alu instid0(SALU_CYCLE_1)
	s_and_b32 vcc_lo, exec_lo, s2
	s_cbranch_vccz .LBB1_29
.LBB1_14:                               ;   in Loop: Header=BB1_5 Depth=1
	v_mov_b32_e32 v15, 0
	s_and_saveexec_b32 s35, s0
	s_cbranch_execz .LBB1_24
; %bb.15:                               ;   in Loop: Header=BB1_5 Depth=1
	v_mad_nc_u64_u32 v[6:7], s20, s24, v[4:5]
	s_mul_u64 s[28:29], s[6:7], s[24:25]
	v_dual_mov_b32 v15, 0 :: v_dual_mov_b32 v16, v0
	s_lshl_b64 s[28:29], s[28:29], 2
	s_mov_b32 s36, 0
	s_add_nc_u64 s[28:29], s[8:9], s[28:29]
	s_delay_alu instid0(VALU_DEP_2)
	v_mad_u32 v7, s21, s24, v7
	s_branch .LBB1_18
.LBB1_16:                               ;   in Loop: Header=BB1_18 Depth=2
	s_delay_alu instid0(VALU_DEP_1) | instskip(NEXT) | instid1(VALU_DEP_2)
	v_mul_u64_e32 v[8:9], v[12:13], v[8:9]
	v_ashrrev_i32_e32 v11, 31, v10
	s_delay_alu instid0(VALU_DEP_2) | instskip(NEXT) | instid1(VALU_DEP_1)
	v_lshlrev_b64_e32 v[8:9], 1, v[8:9]
	v_and_b32_e32 v8, -4, v8
	s_delay_alu instid0(VALU_DEP_1) | instskip(NEXT) | instid1(VALU_DEP_1)
	v_add_nc_u64_e32 v[8:9], s[28:29], v[8:9]
	v_lshl_add_u64 v[8:9], v[10:11], 2, v[8:9]
	global_load_b32 v10, v[8:9], off
	global_load_b32 v11, v[6:7], off
	s_wait_loadcnt 0x0
	v_fmac_f32_e32 v15, v10, v11
.LBB1_17:                               ;   in Loop: Header=BB1_18 Depth=2
	s_wait_xcnt 0x0
	s_or_b32 exec_lo, exec_lo, s37
	v_add_nc_u32_e32 v16, 16, v16
	s_delay_alu instid0(VALU_DEP_2) | instskip(NEXT) | instid1(VALU_DEP_2)
	v_add_nc_u64_e32 v[6:7], s[14:15], v[6:7]
	v_cmp_le_i32_e32 vcc_lo, s17, v16
	s_or_b32 s36, vcc_lo, s36
	s_delay_alu instid0(SALU_CYCLE_1)
	s_and_not1_b32 exec_lo, exec_lo, s36
	s_cbranch_execz .LBB1_23
.LBB1_18:                               ;   Parent Loop BB1_5 Depth=1
                                        ; =>  This Inner Loop Header: Depth=2
	s_and_saveexec_b32 s37, s1
	s_cbranch_execz .LBB1_17
; %bb.19:                               ;   in Loop: Header=BB1_18 Depth=2
	v_cmp_le_i32_e32 vcc_lo, v1, v16
	v_cmp_ge_i32_e64 s2, v1, v16
                                        ; implicit-def: $vgpr12_vgpr13
                                        ; implicit-def: $vgpr10
	s_or_b32 s38, s19, vcc_lo
	s_or_b32 s2, s16, s2
	s_delay_alu instid0(SALU_CYCLE_1) | instskip(SKIP_3) | instid1(VALU_DEP_1)
	s_and_b32 vcc_lo, s38, s2
	s_mov_b32 s2, -1
	v_dual_cndmask_b32 v11, v16, v1 :: v_dual_cndmask_b32 v8, v1, v16
	s_and_b32 vcc_lo, exec_lo, s19
	v_ashrrev_i32_e32 v9, 31, v8
	s_cbranch_vccz .LBB1_21
; %bb.20:                               ;   in Loop: Header=BB1_18 Depth=2
	s_delay_alu instid0(VALU_DEP_1)
	v_sub_nc_u64_e32 v[12:13], s[12:13], v[8:9]
	v_sub_nc_u32_e32 v10, v11, v8
	s_mov_b32 s2, 0
.LBB1_21:                               ;   in Loop: Header=BB1_18 Depth=2
	s_delay_alu instid0(SALU_CYCLE_1)
	s_and_not1_b32 vcc_lo, exec_lo, s2
	s_cbranch_vccnz .LBB1_16
; %bb.22:                               ;   in Loop: Header=BB1_18 Depth=2
	s_delay_alu instid0(VALU_DEP_1)
	v_add_nc_u64_e32 v[12:13], 1, v[8:9]
	v_mov_b32_e32 v10, v11
	s_branch .LBB1_16
.LBB1_23:                               ;   in Loop: Header=BB1_5 Depth=1
	s_or_b32 exec_lo, exec_lo, s36
.LBB1_24:                               ;   in Loop: Header=BB1_5 Depth=1
	s_delay_alu instid0(SALU_CYCLE_1)
	s_or_b32 exec_lo, exec_lo, s35
	ds_store_b32 v14, v15
	s_wait_dscnt 0x0
	s_barrier_signal -1
	s_barrier_wait -1
                                        ; implicit-def: $vgpr6
	s_and_saveexec_b32 s2, s31
	s_cbranch_execz .LBB1_28
; %bb.25:                               ;   in Loop: Header=BB1_5 Depth=1
	ds_load_2addr_stride64_b32 v[6:7], v14 offset1:1
	ds_load_2addr_stride64_b32 v[8:9], v14 offset0:2 offset1:3
	ds_load_2addr_stride64_b32 v[10:11], v14 offset0:4 offset1:5
	;; [unrolled: 1-line block ×3, first 2 shown]
	s_and_not1_b32 vcc_lo, exec_lo, s33
	s_wait_dscnt 0x3
	v_add_f32_e32 v6, v6, v7
	s_wait_dscnt 0x2
	s_delay_alu instid0(VALU_DEP_1) | instskip(NEXT) | instid1(VALU_DEP_1)
	v_add_f32_e32 v6, v8, v6
	v_add_f32_e32 v6, v9, v6
	s_wait_dscnt 0x1
	s_delay_alu instid0(VALU_DEP_1) | instskip(SKIP_3) | instid1(VALU_DEP_1)
	v_add_f32_e32 v8, v10, v6
	ds_load_2addr_stride64_b32 v[6:7], v14 offset0:8 offset1:9
	v_add_f32_e32 v8, v11, v8
	s_wait_dscnt 0x1
	v_add_f32_e32 v10, v12, v8
	ds_load_2addr_stride64_b32 v[8:9], v14 offset0:10 offset1:11
	v_add_f32_e32 v15, v13, v10
	ds_load_2addr_stride64_b32 v[10:11], v14 offset0:12 offset1:13
	ds_load_2addr_stride64_b32 v[12:13], v14 offset0:14 offset1:15
	s_wait_dscnt 0x3
	v_add_f32_e32 v6, v6, v15
	s_delay_alu instid0(VALU_DEP_1) | instskip(SKIP_1) | instid1(VALU_DEP_1)
	v_add_f32_e32 v6, v7, v6
	s_wait_dscnt 0x2
	v_add_f32_e32 v6, v8, v6
	s_delay_alu instid0(VALU_DEP_1) | instskip(SKIP_1) | instid1(VALU_DEP_1)
	v_add_f32_e32 v6, v9, v6
	;; [unrolled: 4-line block ×3, first 2 shown]
	s_wait_dscnt 0x0
	v_add_f32_e32 v6, v12, v6
	s_delay_alu instid0(VALU_DEP_1) | instskip(NEXT) | instid1(VALU_DEP_1)
	v_add_f32_e32 v7, v13, v6
	v_mul_f32_e32 v6, s18, v7
	ds_store_b32 v14, v7
	s_cbranch_vccnz .LBB1_27
; %bb.26:                               ;   in Loop: Header=BB1_5 Depth=1
	v_lshl_add_u64 v[8:9], v[2:3], 2, s[26:27]
	global_load_b32 v7, v[8:9], off
	s_wait_loadcnt 0x0
	v_fmac_f32_e32 v6, s22, v7
.LBB1_27:                               ;   in Loop: Header=BB1_5 Depth=1
	s_or_b32 s34, s34, exec_lo
.LBB1_28:                               ;   in Loop: Header=BB1_5 Depth=1
	s_wait_xcnt 0x0
	s_or_b32 exec_lo, exec_lo, s2
.LBB1_29:                               ;   in Loop: Header=BB1_5 Depth=1
	s_and_saveexec_b32 s2, s34
	s_cbranch_execz .LBB1_3
; %bb.30:                               ;   in Loop: Header=BB1_5 Depth=1
	s_delay_alu instid0(VALU_DEP_2)
	v_lshl_add_u64 v[8:9], v[2:3], 2, s[26:27]
	global_store_b32 v[8:9], v6, off
	s_branch .LBB1_3
.LBB1_31:
	s_endpgm
	.section	.rodata,"a",@progbits
	.p2align	6, 0x0
	.amdhsa_kernel _ZL19rocblas_spmv_kernelILi64ELi16EfPKfPfEvbiT1_lT2_llS4_lllS3_lT3_llli
		.amdhsa_group_segment_fixed_size 4096
		.amdhsa_private_segment_fixed_size 0
		.amdhsa_kernarg_size 392
		.amdhsa_user_sgpr_count 2
		.amdhsa_user_sgpr_dispatch_ptr 0
		.amdhsa_user_sgpr_queue_ptr 0
		.amdhsa_user_sgpr_kernarg_segment_ptr 1
		.amdhsa_user_sgpr_dispatch_id 0
		.amdhsa_user_sgpr_kernarg_preload_length 0
		.amdhsa_user_sgpr_kernarg_preload_offset 0
		.amdhsa_user_sgpr_private_segment_size 0
		.amdhsa_wavefront_size32 1
		.amdhsa_uses_dynamic_stack 0
		.amdhsa_enable_private_segment 0
		.amdhsa_system_sgpr_workgroup_id_x 1
		.amdhsa_system_sgpr_workgroup_id_y 0
		.amdhsa_system_sgpr_workgroup_id_z 1
		.amdhsa_system_sgpr_workgroup_info 0
		.amdhsa_system_vgpr_workitem_id 1
		.amdhsa_next_free_vgpr 17
		.amdhsa_next_free_sgpr 39
		.amdhsa_named_barrier_count 0
		.amdhsa_reserve_vcc 1
		.amdhsa_float_round_mode_32 0
		.amdhsa_float_round_mode_16_64 0
		.amdhsa_float_denorm_mode_32 3
		.amdhsa_float_denorm_mode_16_64 3
		.amdhsa_fp16_overflow 0
		.amdhsa_memory_ordered 1
		.amdhsa_forward_progress 1
		.amdhsa_inst_pref_size 10
		.amdhsa_round_robin_scheduling 0
		.amdhsa_exception_fp_ieee_invalid_op 0
		.amdhsa_exception_fp_denorm_src 0
		.amdhsa_exception_fp_ieee_div_zero 0
		.amdhsa_exception_fp_ieee_overflow 0
		.amdhsa_exception_fp_ieee_underflow 0
		.amdhsa_exception_fp_ieee_inexact 0
		.amdhsa_exception_int_div_zero 0
	.end_amdhsa_kernel
	.section	.text._ZL19rocblas_spmv_kernelILi64ELi16EfPKfPfEvbiT1_lT2_llS4_lllS3_lT3_llli,"axG",@progbits,_ZL19rocblas_spmv_kernelILi64ELi16EfPKfPfEvbiT1_lT2_llS4_lllS3_lT3_llli,comdat
.Lfunc_end1:
	.size	_ZL19rocblas_spmv_kernelILi64ELi16EfPKfPfEvbiT1_lT2_llS4_lllS3_lT3_llli, .Lfunc_end1-_ZL19rocblas_spmv_kernelILi64ELi16EfPKfPfEvbiT1_lT2_llS4_lllS3_lT3_llli
                                        ; -- End function
	.set _ZL19rocblas_spmv_kernelILi64ELi16EfPKfPfEvbiT1_lT2_llS4_lllS3_lT3_llli.num_vgpr, 17
	.set _ZL19rocblas_spmv_kernelILi64ELi16EfPKfPfEvbiT1_lT2_llS4_lllS3_lT3_llli.num_agpr, 0
	.set _ZL19rocblas_spmv_kernelILi64ELi16EfPKfPfEvbiT1_lT2_llS4_lllS3_lT3_llli.numbered_sgpr, 39
	.set _ZL19rocblas_spmv_kernelILi64ELi16EfPKfPfEvbiT1_lT2_llS4_lllS3_lT3_llli.num_named_barrier, 0
	.set _ZL19rocblas_spmv_kernelILi64ELi16EfPKfPfEvbiT1_lT2_llS4_lllS3_lT3_llli.private_seg_size, 0
	.set _ZL19rocblas_spmv_kernelILi64ELi16EfPKfPfEvbiT1_lT2_llS4_lllS3_lT3_llli.uses_vcc, 1
	.set _ZL19rocblas_spmv_kernelILi64ELi16EfPKfPfEvbiT1_lT2_llS4_lllS3_lT3_llli.uses_flat_scratch, 0
	.set _ZL19rocblas_spmv_kernelILi64ELi16EfPKfPfEvbiT1_lT2_llS4_lllS3_lT3_llli.has_dyn_sized_stack, 0
	.set _ZL19rocblas_spmv_kernelILi64ELi16EfPKfPfEvbiT1_lT2_llS4_lllS3_lT3_llli.has_recursion, 0
	.set _ZL19rocblas_spmv_kernelILi64ELi16EfPKfPfEvbiT1_lT2_llS4_lllS3_lT3_llli.has_indirect_call, 0
	.section	.AMDGPU.csdata,"",@progbits
; Kernel info:
; codeLenInByte = 1240
; TotalNumSgprs: 41
; NumVgprs: 17
; ScratchSize: 0
; MemoryBound: 0
; FloatMode: 240
; IeeeMode: 1
; LDSByteSize: 4096 bytes/workgroup (compile time only)
; SGPRBlocks: 0
; VGPRBlocks: 1
; NumSGPRsForWavesPerEU: 41
; NumVGPRsForWavesPerEU: 17
; NamedBarCnt: 0
; Occupancy: 16
; WaveLimiterHint : 1
; COMPUTE_PGM_RSRC2:SCRATCH_EN: 0
; COMPUTE_PGM_RSRC2:USER_SGPR: 2
; COMPUTE_PGM_RSRC2:TRAP_HANDLER: 0
; COMPUTE_PGM_RSRC2:TGID_X_EN: 1
; COMPUTE_PGM_RSRC2:TGID_Y_EN: 0
; COMPUTE_PGM_RSRC2:TGID_Z_EN: 1
; COMPUTE_PGM_RSRC2:TIDIG_COMP_CNT: 1
	.section	.text._ZL19rocblas_spmv_kernelILi64ELi16EPKdS1_PdEvbiT1_lT2_llS4_lllS3_lT3_llli,"axG",@progbits,_ZL19rocblas_spmv_kernelILi64ELi16EPKdS1_PdEvbiT1_lT2_llS4_lllS3_lT3_llli,comdat
	.globl	_ZL19rocblas_spmv_kernelILi64ELi16EPKdS1_PdEvbiT1_lT2_llS4_lllS3_lT3_llli ; -- Begin function _ZL19rocblas_spmv_kernelILi64ELi16EPKdS1_PdEvbiT1_lT2_llS4_lllS3_lT3_llli
	.p2align	8
	.type	_ZL19rocblas_spmv_kernelILi64ELi16EPKdS1_PdEvbiT1_lT2_llS4_lllS3_lT3_llli,@function
_ZL19rocblas_spmv_kernelILi64ELi16EPKdS1_PdEvbiT1_lT2_llS4_lllS3_lT3_llli: ; @_ZL19rocblas_spmv_kernelILi64ELi16EPKdS1_PdEvbiT1_lT2_llS4_lllS3_lT3_llli
; %bb.0:
	s_load_b64 s[2:3], s[0:1], 0x94
	s_wait_kmcnt 0x0
	s_lshr_b32 s4, s2, 16
	s_and_b32 s30, s2, 0xffff
	s_and_b32 s2, s3, 0xffff
	s_mul_i32 s3, s4, s30
	s_delay_alu instid0(SALU_CYCLE_1) | instskip(NEXT) | instid1(SALU_CYCLE_1)
	s_mul_i32 s3, s3, s2
	s_cmp_lg_u32 s3, 0x400
	s_cbranch_scc1 .LBB2_30
; %bb.1:
	s_load_b32 s33, s[0:1], 0x80
	s_bfe_u32 s2, ttmp6, 0x40014
	s_lshr_b32 s3, ttmp7, 16
	s_add_co_i32 s2, s2, 1
	s_bfe_u32 s4, ttmp6, 0x40008
	s_mul_i32 s2, s3, s2
	s_getreg_b32 s31, hwreg(HW_REG_IB_STS2, 6, 4)
	s_add_co_i32 s4, s4, s2
	s_cmp_eq_u32 s31, 0
	s_mov_b32 s29, 0
	s_cselect_b32 s28, s3, s4
	s_wait_kmcnt 0x0
	s_cmp_ge_u32 s28, s33
	s_cbranch_scc1 .LBB2_30
; %bb.2:
	s_clause 0x4
	s_load_b128 s[20:23], s[0:1], 0x20
	s_load_b256 s[4:11], s[0:1], 0x58
	s_load_b64 s[2:3], s[0:1], 0x0
	s_load_b128 s[24:27], s[0:1], 0x8
	s_load_b256 s[12:19], s[0:1], 0x38
	v_and_b32_e32 v1, 0x3ff, v0
	v_bfe_u32 v0, v0, 10, 10
	s_delay_alu instid0(VALU_DEP_1) | instskip(NEXT) | instid1(VALU_DEP_1)
	v_mad_u32_u24 v8, v0, s30, v1
	v_dual_lshrrev_b32 v0, 6, v8 :: v_dual_lshlrev_b32 v21, 3, v8
	v_cmp_gt_u32_e32 vcc_lo, 64, v8
	s_wait_kmcnt 0x0
	s_lshl_b64 s[20:21], s[20:21], 3
	s_lshl_b64 s[36:37], s[8:9], 3
	s_bitcmp1_b32 s2, 0
	s_add_nc_u64 s[6:7], s[6:7], s[36:37]
	s_cselect_b32 s34, -1, 0
	s_bfe_u32 s2, ttmp6, 0x4000c
	s_and_b32 s8, ttmp6, 15
	s_add_co_i32 s2, s2, 1
	s_xor_b32 s35, s34, -1
	s_mul_i32 s2, ttmp9, s2
	s_delay_alu instid0(SALU_CYCLE_1)
	s_add_co_i32 s8, s8, s2
	s_cmp_eq_u32 s31, 0
	s_load_b64 s[30:31], s[0:1], 0x18
	s_cselect_b32 s2, ttmp9, s8
	s_clause 0x1
	s_load_b64 s[38:39], s[0:1], 0x30
	s_load_b64 s[8:9], s[0:1], 0x78
	s_lshl_b32 s2, s2, 6
	s_delay_alu instid0(SALU_CYCLE_1) | instskip(SKIP_3) | instid1(VALU_DEP_2)
	v_dual_mov_b32 v1, 0 :: v_dual_add_nc_u32 v4, s2, v8
	v_and_or_b32 v20, v8, 63, s2
	s_lshl_b64 s[12:13], s[12:13], 3
	s_lshl_b64 s[16:17], s[16:17], 3
	v_mul_u64_e32 v[6:7], s[14:15], v[0:1]
	v_ashrrev_i32_e32 v5, 31, v4
	s_wait_xcnt 0x0
	v_cmp_gt_i32_e64 s0, s3, v4
	v_cmp_gt_i32_e64 s1, s3, v20
	s_lshl_b64 s[14:15], s[14:15], 7
	v_mul_u64_e32 v[2:3], s[10:11], v[4:5]
	s_and_b32 s36, vcc_lo, s0
	v_cmp_gt_i32_e64 s0, s3, v0
	s_wait_kmcnt 0x0
	s_add_nc_u64 s[10:11], s[30:31], s[20:21]
	s_add_nc_u64 s[12:13], s[38:39], s[12:13]
	s_mov_b32 s20, s3
	s_mov_b32 s21, s29
	s_delay_alu instid0(SALU_CYCLE_1)
	s_lshl_b64 s[20:21], s[20:21], 1
	v_lshl_add_u64 v[4:5], v[6:7], 3, s[12:13]
	s_or_b64 s[12:13], s[20:21], 1
	s_branch .LBB2_5
.LBB2_3:                                ;   in Loop: Header=BB2_5 Depth=1
	s_wait_xcnt 0x0
	s_or_b32 exec_lo, exec_lo, s2
.LBB2_4:                                ;   in Loop: Header=BB2_5 Depth=1
	s_add_co_i32 s28, s28, 0x10000
	s_delay_alu instid0(SALU_CYCLE_1)
	s_cmp_lt_u32 s28, s33
	s_cbranch_scc0 .LBB2_30
.LBB2_5:                                ; =>This Loop Header: Depth=1
                                        ;     Child Loop BB2_17 Depth 2
	s_wait_xcnt 0x1
	s_mul_u64 s[20:21], s[26:27], s[28:29]
	s_wait_xcnt 0x0
	s_mul_u64 s[30:31], s[4:5], s[28:29]
	s_lshl_b64 s[20:21], s[20:21], 3
	s_lshl_b64 s[30:31], s[30:31], 3
	s_add_nc_u64 s[20:21], s[24:25], s[20:21]
	s_add_nc_u64 s[30:31], s[18:19], s[30:31]
	s_clause 0x1
	global_load_b64 v[8:9], v1, s[20:21]
	global_load_b64 v[6:7], v1, s[30:31]
	s_wait_loadcnt 0x1
	v_cmp_eq_f64_e32 vcc_lo, 0, v[8:9]
	s_wait_loadcnt 0x0
	v_cmp_eq_f64_e64 s2, 1.0, v[6:7]
	s_and_b32 s2, vcc_lo, s2
	s_delay_alu instid0(SALU_CYCLE_1)
	s_and_b32 vcc_lo, exec_lo, s2
	s_cbranch_vccnz .LBB2_4
; %bb.6:                                ;   in Loop: Header=BB2_5 Depth=1
	v_cmp_neq_f64_e32 vcc_lo, 0, v[8:9]
	s_wait_xcnt 0x1
	s_mul_u64 s[20:21], s[8:9], s[28:29]
	s_delay_alu instid0(SALU_CYCLE_1) | instskip(NEXT) | instid1(SALU_CYCLE_1)
	s_lshl_b64 s[20:21], s[20:21], 3
	s_add_nc_u64 s[20:21], s[6:7], s[20:21]
	s_cbranch_vccnz .LBB2_11
; %bb.7:                                ;   in Loop: Header=BB2_5 Depth=1
	s_mov_b32 s2, 0
	s_mov_b32 s37, 0
                                        ; implicit-def: $vgpr10_vgpr11
	s_wait_xcnt 0x0
	s_and_saveexec_b32 s30, s36
	s_cbranch_execz .LBB2_12
; %bb.8:                                ;   in Loop: Header=BB2_5 Depth=1
	v_cmp_eq_f64_e32 vcc_lo, 0, v[6:7]
	v_mov_b64_e32 v[10:11], 0
	s_cbranch_vccnz .LBB2_10
; %bb.9:                                ;   in Loop: Header=BB2_5 Depth=1
	v_lshl_add_u64 v[10:11], v[2:3], 3, s[20:21]
	global_load_b64 v[10:11], v[10:11], off
	s_wait_loadcnt 0x0
	s_wait_xcnt 0x0
	v_mul_f64_e32 v[10:11], v[6:7], v[10:11]
.LBB2_10:                               ;   in Loop: Header=BB2_5 Depth=1
	s_mov_b32 s37, exec_lo
	s_or_b32 exec_lo, exec_lo, s30
	s_delay_alu instid0(SALU_CYCLE_1)
	s_and_b32 vcc_lo, exec_lo, s2
	s_cbranch_vccnz .LBB2_13
	s_branch .LBB2_28
.LBB2_11:                               ;   in Loop: Header=BB2_5 Depth=1
	s_mov_b32 s37, 0
                                        ; implicit-def: $vgpr10_vgpr11
	s_cbranch_execnz .LBB2_13
	s_branch .LBB2_28
.LBB2_12:                               ;   in Loop: Header=BB2_5 Depth=1
	s_or_b32 exec_lo, exec_lo, s30
	s_delay_alu instid0(SALU_CYCLE_1)
	s_and_b32 vcc_lo, exec_lo, s2
	s_cbranch_vccz .LBB2_28
.LBB2_13:                               ;   in Loop: Header=BB2_5 Depth=1
	v_mov_b64_e32 v[10:11], 0
	s_wait_xcnt 0x0
	s_and_saveexec_b32 s38, s0
	s_cbranch_execz .LBB2_23
; %bb.14:                               ;   in Loop: Header=BB2_5 Depth=1
	v_mad_nc_u64_u32 v[12:13], s16, s28, v[4:5]
	v_mov_b64_e32 v[10:11], 0
	s_mul_u64 s[30:31], s[22:23], s[28:29]
	v_mov_b32_e32 v22, v0
	s_lshl_b64 s[30:31], s[30:31], 3
	s_mov_b32 s39, 0
	s_add_nc_u64 s[30:31], s[10:11], s[30:31]
	s_delay_alu instid0(VALU_DEP_3)
	v_mad_u32 v13, s17, s28, v13
	s_branch .LBB2_17
.LBB2_15:                               ;   in Loop: Header=BB2_17 Depth=2
	s_delay_alu instid0(VALU_DEP_1) | instskip(NEXT) | instid1(VALU_DEP_2)
	v_mul_u64_e32 v[14:15], v[18:19], v[14:15]
	v_ashrrev_i32_e32 v17, 31, v16
	s_delay_alu instid0(VALU_DEP_2) | instskip(NEXT) | instid1(VALU_DEP_1)
	v_lshlrev_b64_e32 v[14:15], 2, v[14:15]
	v_and_b32_e32 v14, -8, v14
	s_delay_alu instid0(VALU_DEP_1) | instskip(NEXT) | instid1(VALU_DEP_1)
	v_add_nc_u64_e32 v[14:15], s[30:31], v[14:15]
	v_lshl_add_u64 v[14:15], v[16:17], 3, v[14:15]
	global_load_b64 v[16:17], v[14:15], off
	global_load_b64 v[18:19], v[12:13], off
	s_wait_loadcnt 0x0
	v_fmac_f64_e32 v[10:11], v[16:17], v[18:19]
.LBB2_16:                               ;   in Loop: Header=BB2_17 Depth=2
	s_wait_xcnt 0x0
	s_or_b32 exec_lo, exec_lo, s40
	v_add_nc_u32_e32 v22, 16, v22
	s_delay_alu instid0(VALU_DEP_2) | instskip(NEXT) | instid1(VALU_DEP_2)
	v_add_nc_u64_e32 v[12:13], s[14:15], v[12:13]
	v_cmp_le_i32_e32 vcc_lo, s3, v22
	s_or_b32 s39, vcc_lo, s39
	s_delay_alu instid0(SALU_CYCLE_1)
	s_and_not1_b32 exec_lo, exec_lo, s39
	s_cbranch_execz .LBB2_22
.LBB2_17:                               ;   Parent Loop BB2_5 Depth=1
                                        ; =>  This Inner Loop Header: Depth=2
	s_and_saveexec_b32 s40, s1
	s_cbranch_execz .LBB2_16
; %bb.18:                               ;   in Loop: Header=BB2_17 Depth=2
	v_cmp_le_i32_e32 vcc_lo, v20, v22
	v_cmp_ge_i32_e64 s2, v20, v22
                                        ; implicit-def: $vgpr18_vgpr19
                                        ; implicit-def: $vgpr16
	s_or_b32 s41, s35, vcc_lo
	s_or_b32 s2, s34, s2
	s_delay_alu instid0(SALU_CYCLE_1) | instskip(SKIP_3) | instid1(VALU_DEP_1)
	s_and_b32 vcc_lo, s41, s2
	s_mov_b32 s2, -1
	v_dual_cndmask_b32 v17, v22, v20 :: v_dual_cndmask_b32 v14, v20, v22
	s_and_b32 vcc_lo, exec_lo, s35
	v_ashrrev_i32_e32 v15, 31, v14
	s_cbranch_vccz .LBB2_20
; %bb.19:                               ;   in Loop: Header=BB2_17 Depth=2
	s_delay_alu instid0(VALU_DEP_1)
	v_sub_nc_u64_e32 v[18:19], s[12:13], v[14:15]
	v_sub_nc_u32_e32 v16, v17, v14
	s_mov_b32 s2, 0
.LBB2_20:                               ;   in Loop: Header=BB2_17 Depth=2
	s_delay_alu instid0(SALU_CYCLE_1)
	s_and_not1_b32 vcc_lo, exec_lo, s2
	s_cbranch_vccnz .LBB2_15
; %bb.21:                               ;   in Loop: Header=BB2_17 Depth=2
	s_delay_alu instid0(VALU_DEP_1)
	v_add_nc_u64_e32 v[18:19], 1, v[14:15]
	v_mov_b32_e32 v16, v17
	s_branch .LBB2_15
.LBB2_22:                               ;   in Loop: Header=BB2_5 Depth=1
	s_or_b32 exec_lo, exec_lo, s39
.LBB2_23:                               ;   in Loop: Header=BB2_5 Depth=1
	s_delay_alu instid0(SALU_CYCLE_1)
	s_or_b32 exec_lo, exec_lo, s38
	ds_store_b64 v21, v[10:11]
	s_wait_dscnt 0x0
	s_barrier_signal -1
	s_barrier_wait -1
                                        ; implicit-def: $vgpr10_vgpr11
	s_and_saveexec_b32 s2, s36
	s_cbranch_execz .LBB2_27
; %bb.24:                               ;   in Loop: Header=BB2_5 Depth=1
	ds_load_2addr_stride64_b64 v[10:13], v21 offset1:1
	ds_load_2addr_stride64_b64 v[14:17], v21 offset0:2 offset1:3
	v_cmp_eq_f64_e32 vcc_lo, 0, v[6:7]
	s_wait_dscnt 0x1
	v_add_f64_e32 v[10:11], v[10:11], v[12:13]
	s_and_b32 vcc_lo, exec_lo, vcc_lo
	s_wait_dscnt 0x0
	s_delay_alu instid0(VALU_DEP_1) | instskip(NEXT) | instid1(VALU_DEP_1)
	v_add_f64_e32 v[10:11], v[14:15], v[10:11]
	v_add_f64_e32 v[18:19], v[16:17], v[10:11]
	ds_load_2addr_stride64_b64 v[10:13], v21 offset0:4 offset1:5
	ds_load_2addr_stride64_b64 v[14:17], v21 offset0:6 offset1:7
	s_wait_dscnt 0x1
	v_add_f64_e32 v[10:11], v[10:11], v[18:19]
	s_delay_alu instid0(VALU_DEP_1) | instskip(SKIP_1) | instid1(VALU_DEP_1)
	v_add_f64_e32 v[10:11], v[12:13], v[10:11]
	s_wait_dscnt 0x0
	v_add_f64_e32 v[10:11], v[14:15], v[10:11]
	s_delay_alu instid0(VALU_DEP_1) | instskip(SKIP_4) | instid1(VALU_DEP_1)
	v_add_f64_e32 v[18:19], v[16:17], v[10:11]
	ds_load_2addr_stride64_b64 v[10:13], v21 offset0:8 offset1:9
	ds_load_2addr_stride64_b64 v[14:17], v21 offset0:10 offset1:11
	s_wait_dscnt 0x1
	v_add_f64_e32 v[10:11], v[10:11], v[18:19]
	v_add_f64_e32 v[10:11], v[12:13], v[10:11]
	s_wait_dscnt 0x0
	s_delay_alu instid0(VALU_DEP_1) | instskip(NEXT) | instid1(VALU_DEP_1)
	v_add_f64_e32 v[10:11], v[14:15], v[10:11]
	v_add_f64_e32 v[18:19], v[16:17], v[10:11]
	ds_load_2addr_stride64_b64 v[10:13], v21 offset0:12 offset1:13
	ds_load_2addr_stride64_b64 v[14:17], v21 offset0:14 offset1:15
	s_wait_dscnt 0x1
	v_add_f64_e32 v[10:11], v[10:11], v[18:19]
	s_delay_alu instid0(VALU_DEP_1) | instskip(SKIP_1) | instid1(VALU_DEP_1)
	v_add_f64_e32 v[10:11], v[12:13], v[10:11]
	s_wait_dscnt 0x0
	v_add_f64_e32 v[10:11], v[14:15], v[10:11]
	s_delay_alu instid0(VALU_DEP_1) | instskip(NEXT) | instid1(VALU_DEP_1)
	v_add_f64_e32 v[12:13], v[16:17], v[10:11]
	v_mul_f64_e32 v[10:11], v[8:9], v[12:13]
	ds_store_b64 v21, v[12:13]
	s_cbranch_vccnz .LBB2_26
; %bb.25:                               ;   in Loop: Header=BB2_5 Depth=1
	v_lshl_add_u64 v[8:9], v[2:3], 3, s[20:21]
	global_load_b64 v[8:9], v[8:9], off
	s_wait_loadcnt 0x0
	v_fmac_f64_e32 v[10:11], v[6:7], v[8:9]
.LBB2_26:                               ;   in Loop: Header=BB2_5 Depth=1
	s_or_b32 s37, s37, exec_lo
.LBB2_27:                               ;   in Loop: Header=BB2_5 Depth=1
	s_wait_xcnt 0x0
	s_or_b32 exec_lo, exec_lo, s2
.LBB2_28:                               ;   in Loop: Header=BB2_5 Depth=1
	s_wait_xcnt 0x0
	s_and_saveexec_b32 s2, s37
	s_cbranch_execz .LBB2_3
; %bb.29:                               ;   in Loop: Header=BB2_5 Depth=1
	v_lshl_add_u64 v[6:7], v[2:3], 3, s[20:21]
	global_store_b64 v[6:7], v[10:11], off
	s_branch .LBB2_3
.LBB2_30:
	s_endpgm
	.section	.rodata,"a",@progbits
	.p2align	6, 0x0
	.amdhsa_kernel _ZL19rocblas_spmv_kernelILi64ELi16EPKdS1_PdEvbiT1_lT2_llS4_lllS3_lT3_llli
		.amdhsa_group_segment_fixed_size 8192
		.amdhsa_private_segment_fixed_size 0
		.amdhsa_kernarg_size 392
		.amdhsa_user_sgpr_count 2
		.amdhsa_user_sgpr_dispatch_ptr 0
		.amdhsa_user_sgpr_queue_ptr 0
		.amdhsa_user_sgpr_kernarg_segment_ptr 1
		.amdhsa_user_sgpr_dispatch_id 0
		.amdhsa_user_sgpr_kernarg_preload_length 0
		.amdhsa_user_sgpr_kernarg_preload_offset 0
		.amdhsa_user_sgpr_private_segment_size 0
		.amdhsa_wavefront_size32 1
		.amdhsa_uses_dynamic_stack 0
		.amdhsa_enable_private_segment 0
		.amdhsa_system_sgpr_workgroup_id_x 1
		.amdhsa_system_sgpr_workgroup_id_y 0
		.amdhsa_system_sgpr_workgroup_id_z 1
		.amdhsa_system_sgpr_workgroup_info 0
		.amdhsa_system_vgpr_workitem_id 1
		.amdhsa_next_free_vgpr 23
		.amdhsa_next_free_sgpr 42
		.amdhsa_named_barrier_count 0
		.amdhsa_reserve_vcc 1
		.amdhsa_float_round_mode_32 0
		.amdhsa_float_round_mode_16_64 0
		.amdhsa_float_denorm_mode_32 3
		.amdhsa_float_denorm_mode_16_64 3
		.amdhsa_fp16_overflow 0
		.amdhsa_memory_ordered 1
		.amdhsa_forward_progress 1
		.amdhsa_inst_pref_size 11
		.amdhsa_round_robin_scheduling 0
		.amdhsa_exception_fp_ieee_invalid_op 0
		.amdhsa_exception_fp_denorm_src 0
		.amdhsa_exception_fp_ieee_div_zero 0
		.amdhsa_exception_fp_ieee_overflow 0
		.amdhsa_exception_fp_ieee_underflow 0
		.amdhsa_exception_fp_ieee_inexact 0
		.amdhsa_exception_int_div_zero 0
	.end_amdhsa_kernel
	.section	.text._ZL19rocblas_spmv_kernelILi64ELi16EPKdS1_PdEvbiT1_lT2_llS4_lllS3_lT3_llli,"axG",@progbits,_ZL19rocblas_spmv_kernelILi64ELi16EPKdS1_PdEvbiT1_lT2_llS4_lllS3_lT3_llli,comdat
.Lfunc_end2:
	.size	_ZL19rocblas_spmv_kernelILi64ELi16EPKdS1_PdEvbiT1_lT2_llS4_lllS3_lT3_llli, .Lfunc_end2-_ZL19rocblas_spmv_kernelILi64ELi16EPKdS1_PdEvbiT1_lT2_llS4_lllS3_lT3_llli
                                        ; -- End function
	.set _ZL19rocblas_spmv_kernelILi64ELi16EPKdS1_PdEvbiT1_lT2_llS4_lllS3_lT3_llli.num_vgpr, 23
	.set _ZL19rocblas_spmv_kernelILi64ELi16EPKdS1_PdEvbiT1_lT2_llS4_lllS3_lT3_llli.num_agpr, 0
	.set _ZL19rocblas_spmv_kernelILi64ELi16EPKdS1_PdEvbiT1_lT2_llS4_lllS3_lT3_llli.numbered_sgpr, 42
	.set _ZL19rocblas_spmv_kernelILi64ELi16EPKdS1_PdEvbiT1_lT2_llS4_lllS3_lT3_llli.num_named_barrier, 0
	.set _ZL19rocblas_spmv_kernelILi64ELi16EPKdS1_PdEvbiT1_lT2_llS4_lllS3_lT3_llli.private_seg_size, 0
	.set _ZL19rocblas_spmv_kernelILi64ELi16EPKdS1_PdEvbiT1_lT2_llS4_lllS3_lT3_llli.uses_vcc, 1
	.set _ZL19rocblas_spmv_kernelILi64ELi16EPKdS1_PdEvbiT1_lT2_llS4_lllS3_lT3_llli.uses_flat_scratch, 0
	.set _ZL19rocblas_spmv_kernelILi64ELi16EPKdS1_PdEvbiT1_lT2_llS4_lllS3_lT3_llli.has_dyn_sized_stack, 0
	.set _ZL19rocblas_spmv_kernelILi64ELi16EPKdS1_PdEvbiT1_lT2_llS4_lllS3_lT3_llli.has_recursion, 0
	.set _ZL19rocblas_spmv_kernelILi64ELi16EPKdS1_PdEvbiT1_lT2_llS4_lllS3_lT3_llli.has_indirect_call, 0
	.section	.AMDGPU.csdata,"",@progbits
; Kernel info:
; codeLenInByte = 1300
; TotalNumSgprs: 44
; NumVgprs: 23
; ScratchSize: 0
; MemoryBound: 0
; FloatMode: 240
; IeeeMode: 1
; LDSByteSize: 8192 bytes/workgroup (compile time only)
; SGPRBlocks: 0
; VGPRBlocks: 1
; NumSGPRsForWavesPerEU: 44
; NumVGPRsForWavesPerEU: 23
; NamedBarCnt: 0
; Occupancy: 16
; WaveLimiterHint : 1
; COMPUTE_PGM_RSRC2:SCRATCH_EN: 0
; COMPUTE_PGM_RSRC2:USER_SGPR: 2
; COMPUTE_PGM_RSRC2:TRAP_HANDLER: 0
; COMPUTE_PGM_RSRC2:TGID_X_EN: 1
; COMPUTE_PGM_RSRC2:TGID_Y_EN: 0
; COMPUTE_PGM_RSRC2:TGID_Z_EN: 1
; COMPUTE_PGM_RSRC2:TIDIG_COMP_CNT: 1
	.section	.text._ZL19rocblas_spmv_kernelILi64ELi16EdPKdPdEvbiT1_lT2_llS4_lllS3_lT3_llli,"axG",@progbits,_ZL19rocblas_spmv_kernelILi64ELi16EdPKdPdEvbiT1_lT2_llS4_lllS3_lT3_llli,comdat
	.globl	_ZL19rocblas_spmv_kernelILi64ELi16EdPKdPdEvbiT1_lT2_llS4_lllS3_lT3_llli ; -- Begin function _ZL19rocblas_spmv_kernelILi64ELi16EdPKdPdEvbiT1_lT2_llS4_lllS3_lT3_llli
	.p2align	8
	.type	_ZL19rocblas_spmv_kernelILi64ELi16EdPKdPdEvbiT1_lT2_llS4_lllS3_lT3_llli,@function
_ZL19rocblas_spmv_kernelILi64ELi16EdPKdPdEvbiT1_lT2_llS4_lllS3_lT3_llli: ; @_ZL19rocblas_spmv_kernelILi64ELi16EdPKdPdEvbiT1_lT2_llS4_lllS3_lT3_llli
; %bb.0:
	s_load_b64 s[2:3], s[0:1], 0x94
	s_wait_kmcnt 0x0
	s_lshr_b32 s4, s2, 16
	s_and_b32 s2, s2, 0xffff
	s_and_b32 s3, s3, 0xffff
	s_mul_i32 s4, s4, s2
	s_delay_alu instid0(SALU_CYCLE_1) | instskip(NEXT) | instid1(SALU_CYCLE_1)
	s_mul_i32 s4, s4, s3
	s_cmp_lg_u32 s4, 0x400
	s_cbranch_scc1 .LBB3_31
; %bb.1:
	s_load_b32 s3, s[0:1], 0x80
	s_bfe_u32 s4, ttmp6, 0x40014
	s_lshr_b32 s5, ttmp7, 16
	s_add_co_i32 s4, s4, 1
	s_bfe_u32 s6, ttmp6, 0x40008
	s_mul_i32 s4, s5, s4
	s_getreg_b32 s26, hwreg(HW_REG_IB_STS2, 6, 4)
	s_add_co_i32 s6, s6, s4
	s_cmp_eq_u32 s26, 0
	s_mov_b32 s25, 0
	s_cselect_b32 s24, s5, s6
	s_wait_kmcnt 0x0
	s_cmp_ge_u32 s24, s3
	s_cbranch_scc1 .LBB3_31
; %bb.2:
	s_clause 0x4
	s_load_b128 s[12:15], s[0:1], 0x0
	s_load_b256 s[4:11], s[0:1], 0x38
	s_load_b128 s[16:19], s[0:1], 0x20
	s_load_b128 s[20:23], s[0:1], 0x68
	s_load_b64 s[36:37], s[0:1], 0x30
	v_and_b32_e32 v2, 0x3ff, v0
	v_bfe_u32 v0, v0, 10, 10
	s_delay_alu instid0(VALU_DEP_1) | instskip(NEXT) | instid1(VALU_DEP_1)
	v_mad_u32_u24 v8, v0, s2, v2
	v_dual_mov_b32 v1, 0 :: v_dual_lshrrev_b32 v0, 6, v8
	v_cmp_gt_u32_e32 vcc_lo, 64, v8
	v_lshlrev_b32_e32 v16, 3, v8
	s_wait_kmcnt 0x0
	v_cmp_neq_f64_e64 s27, s[14:15], 0
	v_cmp_neq_f64_e64 s31, s[10:11], 1.0
	s_lshl_b64 s[28:29], s[16:17], 3
	s_lshl_b64 s[34:35], s[20:21], 3
	s_bitcmp1_b32 s12, 0
	v_mul_u64_e32 v[6:7], s[6:7], v[0:1]
	s_cselect_b32 s12, -1, 0
	s_bfe_u32 s16, ttmp6, 0x4000c
	s_and_b32 s2, ttmp6, 15
	s_add_co_i32 s16, s16, 1
	s_xor_b32 s30, s12, -1
	s_mul_i32 s16, ttmp9, s16
	s_delay_alu instid0(SALU_CYCLE_1)
	s_add_co_i32 s2, s2, s16
	s_load_b64 s[16:17], s[0:1], 0x78
	s_or_b32 s31, s27, s31
	s_cmp_eq_u32 s26, 0
	s_clause 0x1
	s_load_b64 s[20:21], s[0:1], 0x18
	s_load_b64 s[26:27], s[0:1], 0x60
	s_cselect_b32 s2, ttmp9, s2
	s_lshl_b64 s[4:5], s[4:5], 3
	s_lshl_b32 s33, s2, 6
	s_add_nc_u64 s[4:5], s[36:37], s[4:5]
	v_add_nc_u32_e32 v4, s33, v8
	v_and_or_b32 v1, v8, 63, s33
	s_wait_xcnt 0x0
	v_cmp_gt_i32_e64 s0, s13, v0
	s_lshl_b64 s[8:9], s[8:9], 3
	s_lshl_b64 s[6:7], s[6:7], 7
	v_ashrrev_i32_e32 v5, 31, v4
	v_cmp_gt_i32_e64 s2, s13, v4
	v_cmp_gt_i32_e64 s1, s13, v1
	s_delay_alu instid0(VALU_DEP_3)
	v_mul_u64_e32 v[2:3], s[22:23], v[4:5]
	v_lshl_add_u64 v[4:5], v[6:7], 3, s[4:5]
	s_and_b32 s33, vcc_lo, s2
	s_wait_kmcnt 0x0
	s_add_nc_u64 s[20:21], s[20:21], s[28:29]
	s_add_nc_u64 s[22:23], s[26:27], s[34:35]
	v_cmp_eq_f64_e64 s34, s[14:15], 0
	v_cmp_neq_f64_e64 s35, s[10:11], 0
	s_mov_b32 s26, s13
	s_mov_b32 s27, s25
	s_delay_alu instid0(SALU_CYCLE_1) | instskip(NEXT) | instid1(SALU_CYCLE_1)
	s_lshl_b64 s[26:27], s[26:27], 1
	s_or_b64 s[4:5], s[26:27], 1
	s_branch .LBB3_5
.LBB3_3:                                ;   in Loop: Header=BB3_5 Depth=1
	s_wait_xcnt 0x0
	s_or_b32 exec_lo, exec_lo, s2
.LBB3_4:                                ;   in Loop: Header=BB3_5 Depth=1
	s_add_co_i32 s24, s24, 0x10000
	s_delay_alu instid0(SALU_CYCLE_1)
	s_cmp_lt_u32 s24, s3
	s_cbranch_scc0 .LBB3_31
.LBB3_5:                                ; =>This Loop Header: Depth=1
                                        ;     Child Loop BB3_18 Depth 2
	s_and_not1_b32 vcc_lo, exec_lo, s31
	s_cbranch_vccnz .LBB3_4
; %bb.6:                                ;   in Loop: Header=BB3_5 Depth=1
	s_mul_u64 s[26:27], s[16:17], s[24:25]
	s_and_not1_b32 vcc_lo, exec_lo, s34
	s_lshl_b64 s[26:27], s[26:27], 3
	s_delay_alu instid0(SALU_CYCLE_1)
	s_add_nc_u64 s[26:27], s[22:23], s[26:27]
	s_cbranch_vccnz .LBB3_10
; %bb.7:                                ;   in Loop: Header=BB3_5 Depth=1
	s_mov_b32 s2, 0
	s_mov_b32 s36, 0
                                        ; implicit-def: $vgpr6_vgpr7
	s_and_saveexec_b32 s28, s33
	s_cbranch_execz .LBB3_11
; %bb.8:                                ;   in Loop: Header=BB3_5 Depth=1
	s_and_not1_b32 vcc_lo, exec_lo, s35
	s_cbranch_vccnz .LBB3_12
; %bb.9:                                ;   in Loop: Header=BB3_5 Depth=1
	v_lshl_add_u64 v[6:7], v[2:3], 3, s[26:27]
	global_load_b64 v[6:7], v[6:7], off
	s_wait_loadcnt 0x0
	s_wait_xcnt 0x0
	v_mul_f64_e32 v[6:7], s[10:11], v[6:7]
	s_branch .LBB3_13
.LBB3_10:                               ;   in Loop: Header=BB3_5 Depth=1
	s_mov_b32 s36, 0
                                        ; implicit-def: $vgpr6_vgpr7
	s_cbranch_execnz .LBB3_14
	s_branch .LBB3_29
.LBB3_11:                               ;   in Loop: Header=BB3_5 Depth=1
	s_or_b32 exec_lo, exec_lo, s28
	s_delay_alu instid0(SALU_CYCLE_1)
	s_and_b32 vcc_lo, exec_lo, s2
	s_cbranch_vccnz .LBB3_14
	s_branch .LBB3_29
.LBB3_12:                               ;   in Loop: Header=BB3_5 Depth=1
	v_mov_b64_e32 v[6:7], 0
.LBB3_13:                               ;   in Loop: Header=BB3_5 Depth=1
	s_mov_b32 s36, exec_lo
	s_or_b32 exec_lo, exec_lo, s28
	s_delay_alu instid0(SALU_CYCLE_1)
	s_and_b32 vcc_lo, exec_lo, s2
	s_cbranch_vccz .LBB3_29
.LBB3_14:                               ;   in Loop: Header=BB3_5 Depth=1
	v_mov_b64_e32 v[6:7], 0
	s_and_saveexec_b32 s37, s0
	s_cbranch_execz .LBB3_24
; %bb.15:                               ;   in Loop: Header=BB3_5 Depth=1
	v_mad_nc_u64_u32 v[8:9], s8, s24, v[4:5]
	v_mov_b64_e32 v[6:7], 0
	s_mul_u64 s[28:29], s[18:19], s[24:25]
	v_mov_b32_e32 v17, v0
	s_lshl_b64 s[28:29], s[28:29], 3
	s_mov_b32 s38, 0
	s_add_nc_u64 s[28:29], s[20:21], s[28:29]
	s_delay_alu instid0(VALU_DEP_3)
	v_mad_u32 v9, s9, s24, v9
	s_branch .LBB3_18
.LBB3_16:                               ;   in Loop: Header=BB3_18 Depth=2
	s_delay_alu instid0(VALU_DEP_1) | instskip(NEXT) | instid1(VALU_DEP_2)
	v_mul_u64_e32 v[10:11], v[14:15], v[10:11]
	v_ashrrev_i32_e32 v13, 31, v12
	s_delay_alu instid0(VALU_DEP_2) | instskip(NEXT) | instid1(VALU_DEP_1)
	v_lshlrev_b64_e32 v[10:11], 2, v[10:11]
	v_and_b32_e32 v10, -8, v10
	s_delay_alu instid0(VALU_DEP_1) | instskip(NEXT) | instid1(VALU_DEP_1)
	v_add_nc_u64_e32 v[10:11], s[28:29], v[10:11]
	v_lshl_add_u64 v[10:11], v[12:13], 3, v[10:11]
	global_load_b64 v[12:13], v[10:11], off
	global_load_b64 v[14:15], v[8:9], off
	s_wait_loadcnt 0x0
	v_fmac_f64_e32 v[6:7], v[12:13], v[14:15]
.LBB3_17:                               ;   in Loop: Header=BB3_18 Depth=2
	s_wait_xcnt 0x0
	s_or_b32 exec_lo, exec_lo, s39
	v_add_nc_u32_e32 v17, 16, v17
	s_delay_alu instid0(VALU_DEP_2) | instskip(NEXT) | instid1(VALU_DEP_2)
	v_add_nc_u64_e32 v[8:9], s[6:7], v[8:9]
	v_cmp_le_i32_e32 vcc_lo, s13, v17
	s_or_b32 s38, vcc_lo, s38
	s_delay_alu instid0(SALU_CYCLE_1)
	s_and_not1_b32 exec_lo, exec_lo, s38
	s_cbranch_execz .LBB3_23
.LBB3_18:                               ;   Parent Loop BB3_5 Depth=1
                                        ; =>  This Inner Loop Header: Depth=2
	s_and_saveexec_b32 s39, s1
	s_cbranch_execz .LBB3_17
; %bb.19:                               ;   in Loop: Header=BB3_18 Depth=2
	v_cmp_le_i32_e32 vcc_lo, v1, v17
	v_cmp_ge_i32_e64 s2, v1, v17
                                        ; implicit-def: $vgpr14_vgpr15
                                        ; implicit-def: $vgpr12
	s_or_b32 s40, s30, vcc_lo
	s_or_b32 s2, s12, s2
	s_delay_alu instid0(SALU_CYCLE_1) | instskip(SKIP_4) | instid1(VALU_DEP_2)
	s_and_b32 vcc_lo, s40, s2
	s_mov_b32 s2, -1
	v_cndmask_b32_e32 v10, v1, v17, vcc_lo
	v_cndmask_b32_e32 v13, v17, v1, vcc_lo
	s_and_b32 vcc_lo, exec_lo, s30
	v_ashrrev_i32_e32 v11, 31, v10
	s_cbranch_vccz .LBB3_21
; %bb.20:                               ;   in Loop: Header=BB3_18 Depth=2
	s_delay_alu instid0(VALU_DEP_1)
	v_sub_nc_u64_e32 v[14:15], s[4:5], v[10:11]
	v_sub_nc_u32_e32 v12, v13, v10
	s_mov_b32 s2, 0
.LBB3_21:                               ;   in Loop: Header=BB3_18 Depth=2
	s_delay_alu instid0(SALU_CYCLE_1)
	s_and_not1_b32 vcc_lo, exec_lo, s2
	s_cbranch_vccnz .LBB3_16
; %bb.22:                               ;   in Loop: Header=BB3_18 Depth=2
	s_delay_alu instid0(VALU_DEP_1)
	v_add_nc_u64_e32 v[14:15], 1, v[10:11]
	v_mov_b32_e32 v12, v13
	s_branch .LBB3_16
.LBB3_23:                               ;   in Loop: Header=BB3_5 Depth=1
	s_or_b32 exec_lo, exec_lo, s38
.LBB3_24:                               ;   in Loop: Header=BB3_5 Depth=1
	s_delay_alu instid0(SALU_CYCLE_1)
	s_or_b32 exec_lo, exec_lo, s37
	ds_store_b64 v16, v[6:7]
	s_wait_dscnt 0x0
	s_barrier_signal -1
	s_barrier_wait -1
                                        ; implicit-def: $vgpr6_vgpr7
	s_and_saveexec_b32 s2, s33
	s_cbranch_execz .LBB3_28
; %bb.25:                               ;   in Loop: Header=BB3_5 Depth=1
	ds_load_2addr_stride64_b64 v[6:9], v16 offset1:1
	ds_load_2addr_stride64_b64 v[10:13], v16 offset0:2 offset1:3
	s_and_not1_b32 vcc_lo, exec_lo, s35
	s_wait_dscnt 0x1
	v_add_f64_e32 v[6:7], v[6:7], v[8:9]
	s_wait_dscnt 0x0
	s_delay_alu instid0(VALU_DEP_1) | instskip(NEXT) | instid1(VALU_DEP_1)
	v_add_f64_e32 v[6:7], v[10:11], v[6:7]
	v_add_f64_e32 v[14:15], v[12:13], v[6:7]
	ds_load_2addr_stride64_b64 v[6:9], v16 offset0:4 offset1:5
	ds_load_2addr_stride64_b64 v[10:13], v16 offset0:6 offset1:7
	s_wait_dscnt 0x1
	v_add_f64_e32 v[6:7], v[6:7], v[14:15]
	s_delay_alu instid0(VALU_DEP_1) | instskip(SKIP_1) | instid1(VALU_DEP_1)
	v_add_f64_e32 v[6:7], v[8:9], v[6:7]
	s_wait_dscnt 0x0
	v_add_f64_e32 v[6:7], v[10:11], v[6:7]
	s_delay_alu instid0(VALU_DEP_1) | instskip(SKIP_4) | instid1(VALU_DEP_1)
	v_add_f64_e32 v[14:15], v[12:13], v[6:7]
	ds_load_2addr_stride64_b64 v[6:9], v16 offset0:8 offset1:9
	ds_load_2addr_stride64_b64 v[10:13], v16 offset0:10 offset1:11
	s_wait_dscnt 0x1
	v_add_f64_e32 v[6:7], v[6:7], v[14:15]
	v_add_f64_e32 v[6:7], v[8:9], v[6:7]
	s_wait_dscnt 0x0
	s_delay_alu instid0(VALU_DEP_1) | instskip(NEXT) | instid1(VALU_DEP_1)
	v_add_f64_e32 v[6:7], v[10:11], v[6:7]
	v_add_f64_e32 v[14:15], v[12:13], v[6:7]
	ds_load_2addr_stride64_b64 v[6:9], v16 offset0:12 offset1:13
	ds_load_2addr_stride64_b64 v[10:13], v16 offset0:14 offset1:15
	s_wait_dscnt 0x1
	v_add_f64_e32 v[6:7], v[6:7], v[14:15]
	s_delay_alu instid0(VALU_DEP_1) | instskip(SKIP_1) | instid1(VALU_DEP_1)
	v_add_f64_e32 v[6:7], v[8:9], v[6:7]
	s_wait_dscnt 0x0
	v_add_f64_e32 v[6:7], v[10:11], v[6:7]
	s_delay_alu instid0(VALU_DEP_1) | instskip(NEXT) | instid1(VALU_DEP_1)
	v_add_f64_e32 v[8:9], v[12:13], v[6:7]
	v_mul_f64_e32 v[6:7], s[14:15], v[8:9]
	ds_store_b64 v16, v[8:9]
	s_cbranch_vccnz .LBB3_27
; %bb.26:                               ;   in Loop: Header=BB3_5 Depth=1
	v_lshl_add_u64 v[8:9], v[2:3], 3, s[26:27]
	global_load_b64 v[8:9], v[8:9], off
	s_wait_loadcnt 0x0
	v_fmac_f64_e32 v[6:7], s[10:11], v[8:9]
.LBB3_27:                               ;   in Loop: Header=BB3_5 Depth=1
	s_or_b32 s36, s36, exec_lo
.LBB3_28:                               ;   in Loop: Header=BB3_5 Depth=1
	s_wait_xcnt 0x0
	s_or_b32 exec_lo, exec_lo, s2
.LBB3_29:                               ;   in Loop: Header=BB3_5 Depth=1
	s_and_saveexec_b32 s2, s36
	s_cbranch_execz .LBB3_3
; %bb.30:                               ;   in Loop: Header=BB3_5 Depth=1
	v_lshl_add_u64 v[8:9], v[2:3], 3, s[26:27]
	global_store_b64 v[8:9], v[6:7], off
	s_branch .LBB3_3
.LBB3_31:
	s_endpgm
	.section	.rodata,"a",@progbits
	.p2align	6, 0x0
	.amdhsa_kernel _ZL19rocblas_spmv_kernelILi64ELi16EdPKdPdEvbiT1_lT2_llS4_lllS3_lT3_llli
		.amdhsa_group_segment_fixed_size 8192
		.amdhsa_private_segment_fixed_size 0
		.amdhsa_kernarg_size 392
		.amdhsa_user_sgpr_count 2
		.amdhsa_user_sgpr_dispatch_ptr 0
		.amdhsa_user_sgpr_queue_ptr 0
		.amdhsa_user_sgpr_kernarg_segment_ptr 1
		.amdhsa_user_sgpr_dispatch_id 0
		.amdhsa_user_sgpr_kernarg_preload_length 0
		.amdhsa_user_sgpr_kernarg_preload_offset 0
		.amdhsa_user_sgpr_private_segment_size 0
		.amdhsa_wavefront_size32 1
		.amdhsa_uses_dynamic_stack 0
		.amdhsa_enable_private_segment 0
		.amdhsa_system_sgpr_workgroup_id_x 1
		.amdhsa_system_sgpr_workgroup_id_y 0
		.amdhsa_system_sgpr_workgroup_id_z 1
		.amdhsa_system_sgpr_workgroup_info 0
		.amdhsa_system_vgpr_workitem_id 1
		.amdhsa_next_free_vgpr 18
		.amdhsa_next_free_sgpr 41
		.amdhsa_named_barrier_count 0
		.amdhsa_reserve_vcc 1
		.amdhsa_float_round_mode_32 0
		.amdhsa_float_round_mode_16_64 0
		.amdhsa_float_denorm_mode_32 3
		.amdhsa_float_denorm_mode_16_64 3
		.amdhsa_fp16_overflow 0
		.amdhsa_memory_ordered 1
		.amdhsa_forward_progress 1
		.amdhsa_inst_pref_size 10
		.amdhsa_round_robin_scheduling 0
		.amdhsa_exception_fp_ieee_invalid_op 0
		.amdhsa_exception_fp_denorm_src 0
		.amdhsa_exception_fp_ieee_div_zero 0
		.amdhsa_exception_fp_ieee_overflow 0
		.amdhsa_exception_fp_ieee_underflow 0
		.amdhsa_exception_fp_ieee_inexact 0
		.amdhsa_exception_int_div_zero 0
	.end_amdhsa_kernel
	.section	.text._ZL19rocblas_spmv_kernelILi64ELi16EdPKdPdEvbiT1_lT2_llS4_lllS3_lT3_llli,"axG",@progbits,_ZL19rocblas_spmv_kernelILi64ELi16EdPKdPdEvbiT1_lT2_llS4_lllS3_lT3_llli,comdat
.Lfunc_end3:
	.size	_ZL19rocblas_spmv_kernelILi64ELi16EdPKdPdEvbiT1_lT2_llS4_lllS3_lT3_llli, .Lfunc_end3-_ZL19rocblas_spmv_kernelILi64ELi16EdPKdPdEvbiT1_lT2_llS4_lllS3_lT3_llli
                                        ; -- End function
	.set _ZL19rocblas_spmv_kernelILi64ELi16EdPKdPdEvbiT1_lT2_llS4_lllS3_lT3_llli.num_vgpr, 18
	.set _ZL19rocblas_spmv_kernelILi64ELi16EdPKdPdEvbiT1_lT2_llS4_lllS3_lT3_llli.num_agpr, 0
	.set _ZL19rocblas_spmv_kernelILi64ELi16EdPKdPdEvbiT1_lT2_llS4_lllS3_lT3_llli.numbered_sgpr, 41
	.set _ZL19rocblas_spmv_kernelILi64ELi16EdPKdPdEvbiT1_lT2_llS4_lllS3_lT3_llli.num_named_barrier, 0
	.set _ZL19rocblas_spmv_kernelILi64ELi16EdPKdPdEvbiT1_lT2_llS4_lllS3_lT3_llli.private_seg_size, 0
	.set _ZL19rocblas_spmv_kernelILi64ELi16EdPKdPdEvbiT1_lT2_llS4_lllS3_lT3_llli.uses_vcc, 1
	.set _ZL19rocblas_spmv_kernelILi64ELi16EdPKdPdEvbiT1_lT2_llS4_lllS3_lT3_llli.uses_flat_scratch, 0
	.set _ZL19rocblas_spmv_kernelILi64ELi16EdPKdPdEvbiT1_lT2_llS4_lllS3_lT3_llli.has_dyn_sized_stack, 0
	.set _ZL19rocblas_spmv_kernelILi64ELi16EdPKdPdEvbiT1_lT2_llS4_lllS3_lT3_llli.has_recursion, 0
	.set _ZL19rocblas_spmv_kernelILi64ELi16EdPKdPdEvbiT1_lT2_llS4_lllS3_lT3_llli.has_indirect_call, 0
	.section	.AMDGPU.csdata,"",@progbits
; Kernel info:
; codeLenInByte = 1228
; TotalNumSgprs: 43
; NumVgprs: 18
; ScratchSize: 0
; MemoryBound: 0
; FloatMode: 240
; IeeeMode: 1
; LDSByteSize: 8192 bytes/workgroup (compile time only)
; SGPRBlocks: 0
; VGPRBlocks: 1
; NumSGPRsForWavesPerEU: 43
; NumVGPRsForWavesPerEU: 18
; NamedBarCnt: 0
; Occupancy: 16
; WaveLimiterHint : 1
; COMPUTE_PGM_RSRC2:SCRATCH_EN: 0
; COMPUTE_PGM_RSRC2:USER_SGPR: 2
; COMPUTE_PGM_RSRC2:TRAP_HANDLER: 0
; COMPUTE_PGM_RSRC2:TGID_X_EN: 1
; COMPUTE_PGM_RSRC2:TGID_Y_EN: 0
; COMPUTE_PGM_RSRC2:TGID_Z_EN: 1
; COMPUTE_PGM_RSRC2:TIDIG_COMP_CNT: 1
	.section	.text._ZL19rocblas_spmv_kernelILi64ELi16EPKfPKS1_PKPfEvbiT1_lT2_llS8_lllS7_lT3_llli,"axG",@progbits,_ZL19rocblas_spmv_kernelILi64ELi16EPKfPKS1_PKPfEvbiT1_lT2_llS8_lllS7_lT3_llli,comdat
	.globl	_ZL19rocblas_spmv_kernelILi64ELi16EPKfPKS1_PKPfEvbiT1_lT2_llS8_lllS7_lT3_llli ; -- Begin function _ZL19rocblas_spmv_kernelILi64ELi16EPKfPKS1_PKPfEvbiT1_lT2_llS8_lllS7_lT3_llli
	.p2align	8
	.type	_ZL19rocblas_spmv_kernelILi64ELi16EPKfPKS1_PKPfEvbiT1_lT2_llS8_lllS7_lT3_llli,@function
_ZL19rocblas_spmv_kernelILi64ELi16EPKfPKS1_PKPfEvbiT1_lT2_llS8_lllS7_lT3_llli: ; @_ZL19rocblas_spmv_kernelILi64ELi16EPKfPKS1_PKPfEvbiT1_lT2_llS8_lllS7_lT3_llli
; %bb.0:
	s_clause 0x1
	s_load_b64 s[4:5], s[0:1], 0x94
	s_load_b32 s33, s[0:1], 0x80
	s_bfe_u32 s2, ttmp6, 0x40014
	s_lshr_b32 s6, ttmp7, 16
	s_add_co_i32 s2, s2, 1
	s_bfe_u32 s3, ttmp6, 0x40008
	s_mul_i32 s7, s6, s2
	s_getreg_b32 s2, hwreg(HW_REG_IB_STS2, 6, 4)
	s_add_co_i32 s7, s3, s7
	s_mov_b32 s25, 0
	s_wait_kmcnt 0x0
	s_lshr_b32 s8, s4, 16
	s_and_b32 s3, s4, 0xffff
	s_and_b32 s4, s5, 0xffff
	s_mul_i32 s5, s8, s3
	s_cmp_eq_u32 s2, 0
	s_mul_i32 s5, s5, s4
	s_cselect_b32 s24, s6, s7
	s_cmp_lg_u32 s5, 0x400
	s_cselect_b32 s4, -1, 0
	s_cmp_ge_u32 s24, s33
	s_cselect_b32 s5, -1, 0
	s_delay_alu instid0(SALU_CYCLE_1) | instskip(NEXT) | instid1(SALU_CYCLE_1)
	s_or_b32 s4, s4, s5
	s_and_b32 vcc_lo, exec_lo, s4
	s_cbranch_vccnz .LBB4_34
; %bb.1:
	s_clause 0x1
	s_load_b64 s[26:27], s[0:1], 0x0
	s_load_b128 s[16:19], s[0:1], 0x38
	v_and_b32_e32 v1, 0x3ff, v0
	v_bfe_u32 v0, v0, 10, 10
	s_load_b128 s[20:23], s[0:1], 0x68
	s_delay_alu instid0(VALU_DEP_1) | instskip(NEXT) | instid1(VALU_DEP_1)
	v_mad_u32_u24 v8, v0, s3, v1
	v_dual_mov_b32 v1, 0 :: v_dual_lshrrev_b32 v0, 6, v8
	v_cmp_gt_u32_e32 vcc_lo, 64, v8
	v_lshlrev_b32_e32 v15, 2, v8
	s_wait_kmcnt 0x0
	s_bitcmp1_b32 s26, 0
	v_mul_u64_e32 v[6:7], s[18:19], v[0:1]
	s_cselect_b32 s26, -1, 0
	s_bfe_u32 s4, ttmp6, 0x4000c
	s_and_b32 s3, ttmp6, 15
	s_add_co_i32 s4, s4, 1
	s_xor_b32 s40, s26, -1
	s_mul_i32 s4, ttmp9, s4
	s_delay_alu instid0(SALU_CYCLE_1)
	s_add_co_i32 s3, s3, s4
	s_cmp_eq_u32 s2, 0
	s_cselect_b32 s2, ttmp9, s3
	s_mov_b32 s3, s25
	s_lshl_b32 s2, s2, 6
	s_lshl_b64 s[18:19], s[18:19], 6
	v_add_nc_u32_e32 v4, s2, v8
	v_and_or_b32 v14, v8, 63, s2
	s_mov_b32 s2, s27
	s_lshl_b64 s[16:17], s[16:17], 2
	s_lshl_b64 s[2:3], s[2:3], 1
	v_ashrrev_i32_e32 v5, 31, v4
	s_or_b64 s[30:31], s[2:3], 1
	s_lshl_b64 s[20:21], s[20:21], 2
	s_delay_alu instid0(VALU_DEP_1)
	v_mul_u64_e32 v[2:3], s[22:23], v[4:5]
	s_clause 0x3
	s_load_b64 s[22:23], s[0:1], 0x30
	s_load_b256 s[4:11], s[0:1], 0x8
	s_load_b64 s[28:29], s[0:1], 0x60
	s_load_b128 s[12:15], s[0:1], 0x50
	s_wait_xcnt 0x0
	v_cmp_gt_i32_e64 s0, s27, v4
	v_cmp_gt_i32_e64 s1, s27, v14
	s_and_b32 s41, vcc_lo, s0
	v_lshlrev_b64_e32 v[4:5], 2, v[6:7]
	v_cmp_gt_i32_e64 s0, s27, v0
	s_wait_kmcnt 0x0
	s_lshl_b64 s[10:11], s[10:11], 2
	s_branch .LBB4_4
.LBB4_2:                                ;   in Loop: Header=BB4_4 Depth=1
	s_wait_xcnt 0x0
	s_or_b32 exec_lo, exec_lo, s2
.LBB4_3:                                ;   in Loop: Header=BB4_4 Depth=1
	s_add_co_i32 s24, s24, 0x10000
	s_delay_alu instid0(SALU_CYCLE_1)
	s_cmp_lt_u32 s24, s33
	s_cbranch_scc0 .LBB4_34
.LBB4_4:                                ; =>This Loop Header: Depth=1
                                        ;     Child Loop BB4_21 Depth 2
	s_mul_u64 s[2:3], s[6:7], s[24:25]
	s_wait_xcnt 0x0
	s_mul_u64 s[34:35], s[14:15], s[24:25]
	s_lshl_b64 s[2:3], s[2:3], 2
	s_lshl_b64 s[34:35], s[34:35], 2
	s_add_nc_u64 s[2:3], s[4:5], s[2:3]
	s_add_nc_u64 s[34:35], s[12:13], s[34:35]
	s_clause 0x1
	global_load_b32 v16, v1, s[2:3]
	global_load_b32 v6, v1, s[34:35]
	s_wait_loadcnt 0x1
	s_wait_xcnt 0x1
	v_cmp_eq_f32_e64 s2, 0, v16
	s_wait_loadcnt 0x0
	v_cmp_eq_f32_e32 vcc_lo, 1.0, v6
	v_readfirstlane_b32 s42, v6
	s_and_b32 s3, s2, vcc_lo
	s_delay_alu instid0(SALU_CYCLE_1)
	s_and_b32 vcc_lo, exec_lo, s3
	s_cbranch_vccnz .LBB4_3
; %bb.5:                                ;   in Loop: Header=BB4_4 Depth=1
	v_cmp_neq_f32_e64 s3, 0, v16
	s_mov_b64 s[38:39], 0
	s_and_b32 vcc_lo, exec_lo, s2
	s_mov_b64 s[36:37], 0
	s_cbranch_vccnz .LBB4_7
; %bb.6:                                ;   in Loop: Header=BB4_4 Depth=1
	s_wait_xcnt 0x0
	s_lshl_b64 s[34:35], s[24:25], 3
	s_delay_alu instid0(SALU_CYCLE_1)
	s_add_nc_u64 s[34:35], s[8:9], s[34:35]
	s_load_b64 s[34:35], s[34:35], 0x0
	s_wait_kmcnt 0x0
	s_add_nc_u64 s[36:37], s[34:35], s[10:11]
.LBB4_7:                                ;   in Loop: Header=BB4_4 Depth=1
	s_and_not1_b32 vcc_lo, exec_lo, s3
	s_cbranch_vccnz .LBB4_9
; %bb.8:                                ;   in Loop: Header=BB4_4 Depth=1
	s_wait_xcnt 0x0
	s_lshl_b64 s[34:35], s[24:25], 3
	s_delay_alu instid0(SALU_CYCLE_1)
	s_add_nc_u64 s[34:35], s[22:23], s[34:35]
	s_load_b64 s[34:35], s[34:35], 0x0
	s_wait_kmcnt 0x0
	s_add_nc_u64 s[38:39], s[34:35], s[16:17]
.LBB4_9:                                ;   in Loop: Header=BB4_4 Depth=1
	s_wait_xcnt 0x0
	s_lshl_b64 s[34:35], s[24:25], 3
	s_and_not1_b32 vcc_lo, exec_lo, s2
	s_add_nc_u64 s[34:35], s[28:29], s[34:35]
	s_load_b64 s[34:35], s[34:35], 0x0
	s_wait_kmcnt 0x0
	s_wait_xcnt 0x0
	s_add_nc_u64 s[34:35], s[34:35], s[20:21]
	s_cbranch_vccnz .LBB4_13
; %bb.10:                               ;   in Loop: Header=BB4_4 Depth=1
	s_mov_b32 s2, 0
	s_mov_b32 s3, 0
                                        ; implicit-def: $vgpr6
	s_and_saveexec_b32 s43, s41
	s_cbranch_execz .LBB4_14
; %bb.11:                               ;   in Loop: Header=BB4_4 Depth=1
	s_cmp_eq_f32 s42, 0
	s_cbranch_scc1 .LBB4_15
; %bb.12:                               ;   in Loop: Header=BB4_4 Depth=1
	v_lshl_add_u64 v[6:7], v[2:3], 2, s[34:35]
	flat_load_b32 v6, v[6:7]
	s_wait_loadcnt_dscnt 0x0
	s_wait_xcnt 0x0
	v_mul_f32_e32 v6, s42, v6
	s_branch .LBB4_16
.LBB4_13:                               ;   in Loop: Header=BB4_4 Depth=1
	s_mov_b32 s3, 0
                                        ; implicit-def: $vgpr6
	s_cbranch_execnz .LBB4_17
	s_branch .LBB4_32
.LBB4_14:                               ;   in Loop: Header=BB4_4 Depth=1
	s_or_b32 exec_lo, exec_lo, s43
	s_delay_alu instid0(SALU_CYCLE_1)
	s_and_b32 vcc_lo, exec_lo, s2
	s_cbranch_vccnz .LBB4_17
	s_branch .LBB4_32
.LBB4_15:                               ;   in Loop: Header=BB4_4 Depth=1
	v_mov_b32_e32 v6, 0
.LBB4_16:                               ;   in Loop: Header=BB4_4 Depth=1
	s_mov_b32 s3, exec_lo
	s_or_b32 exec_lo, exec_lo, s43
	s_delay_alu instid0(SALU_CYCLE_1)
	s_and_b32 vcc_lo, exec_lo, s2
	s_cbranch_vccz .LBB4_32
.LBB4_17:                               ;   in Loop: Header=BB4_4 Depth=1
	v_mov_b32_e32 v17, 0
	s_and_saveexec_b32 s43, s0
	s_cbranch_execz .LBB4_27
; %bb.18:                               ;   in Loop: Header=BB4_4 Depth=1
	v_add_nc_u64_e32 v[6:7], s[38:39], v[4:5]
	v_dual_mov_b32 v17, 0 :: v_dual_mov_b32 v18, v0
	s_mov_b32 s38, 0
	s_branch .LBB4_21
.LBB4_19:                               ;   in Loop: Header=BB4_21 Depth=2
	s_delay_alu instid0(VALU_DEP_1) | instskip(NEXT) | instid1(VALU_DEP_2)
	v_mul_u64_e32 v[8:9], v[12:13], v[8:9]
	v_ashrrev_i32_e32 v11, 31, v10
	s_delay_alu instid0(VALU_DEP_2) | instskip(NEXT) | instid1(VALU_DEP_1)
	v_lshlrev_b64_e32 v[8:9], 1, v[8:9]
	v_and_b32_e32 v8, -4, v8
	s_delay_alu instid0(VALU_DEP_1) | instskip(NEXT) | instid1(VALU_DEP_1)
	v_add_nc_u64_e32 v[8:9], s[36:37], v[8:9]
	v_lshl_add_u64 v[8:9], v[10:11], 2, v[8:9]
	flat_load_b32 v10, v[8:9]
	flat_load_b32 v11, v[6:7]
	s_wait_loadcnt_dscnt 0x0
	v_fmac_f32_e32 v17, v10, v11
.LBB4_20:                               ;   in Loop: Header=BB4_21 Depth=2
	s_wait_xcnt 0x0
	s_or_b32 exec_lo, exec_lo, s39
	v_add_nc_u32_e32 v18, 16, v18
	v_add_nc_u64_e32 v[6:7], s[18:19], v[6:7]
	s_delay_alu instid0(VALU_DEP_2) | instskip(SKIP_1) | instid1(SALU_CYCLE_1)
	v_cmp_le_i32_e32 vcc_lo, s27, v18
	s_or_b32 s38, vcc_lo, s38
	s_and_not1_b32 exec_lo, exec_lo, s38
	s_cbranch_execz .LBB4_26
.LBB4_21:                               ;   Parent Loop BB4_4 Depth=1
                                        ; =>  This Inner Loop Header: Depth=2
	s_and_saveexec_b32 s39, s1
	s_cbranch_execz .LBB4_20
; %bb.22:                               ;   in Loop: Header=BB4_21 Depth=2
	v_cmp_le_i32_e32 vcc_lo, v14, v18
	v_cmp_ge_i32_e64 s2, v14, v18
                                        ; implicit-def: $vgpr12_vgpr13
                                        ; implicit-def: $vgpr10
	s_or_b32 s44, s40, vcc_lo
	s_or_b32 s2, s26, s2
	s_delay_alu instid0(SALU_CYCLE_1) | instskip(SKIP_4) | instid1(VALU_DEP_2)
	s_and_b32 vcc_lo, s44, s2
	s_mov_b32 s2, -1
	v_cndmask_b32_e32 v8, v14, v18, vcc_lo
	v_cndmask_b32_e32 v11, v18, v14, vcc_lo
	s_and_b32 vcc_lo, exec_lo, s40
	v_ashrrev_i32_e32 v9, 31, v8
	s_cbranch_vccz .LBB4_24
; %bb.23:                               ;   in Loop: Header=BB4_21 Depth=2
	s_delay_alu instid0(VALU_DEP_1)
	v_sub_nc_u64_e32 v[12:13], s[30:31], v[8:9]
	v_sub_nc_u32_e32 v10, v11, v8
	s_mov_b32 s2, 0
.LBB4_24:                               ;   in Loop: Header=BB4_21 Depth=2
	s_delay_alu instid0(SALU_CYCLE_1)
	s_and_not1_b32 vcc_lo, exec_lo, s2
	s_cbranch_vccnz .LBB4_19
; %bb.25:                               ;   in Loop: Header=BB4_21 Depth=2
	s_delay_alu instid0(VALU_DEP_1)
	v_add_nc_u64_e32 v[12:13], 1, v[8:9]
	v_mov_b32_e32 v10, v11
	s_branch .LBB4_19
.LBB4_26:                               ;   in Loop: Header=BB4_4 Depth=1
	s_or_b32 exec_lo, exec_lo, s38
.LBB4_27:                               ;   in Loop: Header=BB4_4 Depth=1
	s_delay_alu instid0(SALU_CYCLE_1)
	s_or_b32 exec_lo, exec_lo, s43
	ds_store_b32 v15, v17
	s_wait_dscnt 0x0
	s_barrier_signal -1
	s_barrier_wait -1
                                        ; implicit-def: $vgpr6
	s_and_saveexec_b32 s2, s41
	s_cbranch_execz .LBB4_31
; %bb.28:                               ;   in Loop: Header=BB4_4 Depth=1
	ds_load_2addr_stride64_b32 v[6:7], v15 offset1:1
	ds_load_2addr_stride64_b32 v[8:9], v15 offset0:2 offset1:3
	ds_load_2addr_stride64_b32 v[10:11], v15 offset0:4 offset1:5
	;; [unrolled: 1-line block ×3, first 2 shown]
	s_cmp_eq_f32 s42, 0
	s_wait_dscnt 0x3
	v_add_f32_e32 v6, v6, v7
	s_wait_dscnt 0x2
	s_delay_alu instid0(VALU_DEP_1) | instskip(NEXT) | instid1(VALU_DEP_1)
	v_add_f32_e32 v6, v8, v6
	v_add_f32_e32 v6, v9, v6
	s_wait_dscnt 0x1
	s_delay_alu instid0(VALU_DEP_1) | instskip(SKIP_3) | instid1(VALU_DEP_1)
	v_add_f32_e32 v8, v10, v6
	ds_load_2addr_stride64_b32 v[6:7], v15 offset0:8 offset1:9
	v_add_f32_e32 v8, v11, v8
	s_wait_dscnt 0x1
	v_add_f32_e32 v10, v12, v8
	ds_load_2addr_stride64_b32 v[8:9], v15 offset0:10 offset1:11
	v_add_f32_e32 v17, v13, v10
	ds_load_2addr_stride64_b32 v[10:11], v15 offset0:12 offset1:13
	ds_load_2addr_stride64_b32 v[12:13], v15 offset0:14 offset1:15
	s_wait_dscnt 0x3
	v_add_f32_e32 v6, v6, v17
	s_delay_alu instid0(VALU_DEP_1) | instskip(SKIP_1) | instid1(VALU_DEP_1)
	v_add_f32_e32 v6, v7, v6
	s_wait_dscnt 0x2
	v_add_f32_e32 v6, v8, v6
	s_delay_alu instid0(VALU_DEP_1) | instskip(SKIP_1) | instid1(VALU_DEP_1)
	v_add_f32_e32 v6, v9, v6
	;; [unrolled: 4-line block ×3, first 2 shown]
	s_wait_dscnt 0x0
	v_add_f32_e32 v6, v12, v6
	s_delay_alu instid0(VALU_DEP_1) | instskip(NEXT) | instid1(VALU_DEP_1)
	v_add_f32_e32 v7, v13, v6
	v_mul_f32_e32 v6, v16, v7
	ds_store_b32 v15, v7
	s_cbranch_scc1 .LBB4_30
; %bb.29:                               ;   in Loop: Header=BB4_4 Depth=1
	v_lshl_add_u64 v[8:9], v[2:3], 2, s[34:35]
	flat_load_b32 v7, v[8:9]
	s_wait_loadcnt_dscnt 0x0
	v_fmac_f32_e32 v6, s42, v7
.LBB4_30:                               ;   in Loop: Header=BB4_4 Depth=1
	s_or_b32 s3, s3, exec_lo
.LBB4_31:                               ;   in Loop: Header=BB4_4 Depth=1
	s_wait_xcnt 0x0
	s_or_b32 exec_lo, exec_lo, s2
.LBB4_32:                               ;   in Loop: Header=BB4_4 Depth=1
	s_and_saveexec_b32 s2, s3
	s_cbranch_execz .LBB4_2
; %bb.33:                               ;   in Loop: Header=BB4_4 Depth=1
	v_lshl_add_u64 v[8:9], v[2:3], 2, s[34:35]
	flat_store_b32 v[8:9], v6
	s_branch .LBB4_2
.LBB4_34:
	s_endpgm
	.section	.rodata,"a",@progbits
	.p2align	6, 0x0
	.amdhsa_kernel _ZL19rocblas_spmv_kernelILi64ELi16EPKfPKS1_PKPfEvbiT1_lT2_llS8_lllS7_lT3_llli
		.amdhsa_group_segment_fixed_size 4096
		.amdhsa_private_segment_fixed_size 0
		.amdhsa_kernarg_size 392
		.amdhsa_user_sgpr_count 2
		.amdhsa_user_sgpr_dispatch_ptr 0
		.amdhsa_user_sgpr_queue_ptr 0
		.amdhsa_user_sgpr_kernarg_segment_ptr 1
		.amdhsa_user_sgpr_dispatch_id 0
		.amdhsa_user_sgpr_kernarg_preload_length 0
		.amdhsa_user_sgpr_kernarg_preload_offset 0
		.amdhsa_user_sgpr_private_segment_size 0
		.amdhsa_wavefront_size32 1
		.amdhsa_uses_dynamic_stack 0
		.amdhsa_enable_private_segment 0
		.amdhsa_system_sgpr_workgroup_id_x 1
		.amdhsa_system_sgpr_workgroup_id_y 0
		.amdhsa_system_sgpr_workgroup_id_z 1
		.amdhsa_system_sgpr_workgroup_info 0
		.amdhsa_system_vgpr_workitem_id 1
		.amdhsa_next_free_vgpr 19
		.amdhsa_next_free_sgpr 45
		.amdhsa_named_barrier_count 0
		.amdhsa_reserve_vcc 1
		.amdhsa_float_round_mode_32 0
		.amdhsa_float_round_mode_16_64 0
		.amdhsa_float_denorm_mode_32 3
		.amdhsa_float_denorm_mode_16_64 3
		.amdhsa_fp16_overflow 0
		.amdhsa_memory_ordered 1
		.amdhsa_forward_progress 1
		.amdhsa_inst_pref_size 11
		.amdhsa_round_robin_scheduling 0
		.amdhsa_exception_fp_ieee_invalid_op 0
		.amdhsa_exception_fp_denorm_src 0
		.amdhsa_exception_fp_ieee_div_zero 0
		.amdhsa_exception_fp_ieee_overflow 0
		.amdhsa_exception_fp_ieee_underflow 0
		.amdhsa_exception_fp_ieee_inexact 0
		.amdhsa_exception_int_div_zero 0
	.end_amdhsa_kernel
	.section	.text._ZL19rocblas_spmv_kernelILi64ELi16EPKfPKS1_PKPfEvbiT1_lT2_llS8_lllS7_lT3_llli,"axG",@progbits,_ZL19rocblas_spmv_kernelILi64ELi16EPKfPKS1_PKPfEvbiT1_lT2_llS8_lllS7_lT3_llli,comdat
.Lfunc_end4:
	.size	_ZL19rocblas_spmv_kernelILi64ELi16EPKfPKS1_PKPfEvbiT1_lT2_llS8_lllS7_lT3_llli, .Lfunc_end4-_ZL19rocblas_spmv_kernelILi64ELi16EPKfPKS1_PKPfEvbiT1_lT2_llS8_lllS7_lT3_llli
                                        ; -- End function
	.set _ZL19rocblas_spmv_kernelILi64ELi16EPKfPKS1_PKPfEvbiT1_lT2_llS8_lllS7_lT3_llli.num_vgpr, 19
	.set _ZL19rocblas_spmv_kernelILi64ELi16EPKfPKS1_PKPfEvbiT1_lT2_llS8_lllS7_lT3_llli.num_agpr, 0
	.set _ZL19rocblas_spmv_kernelILi64ELi16EPKfPKS1_PKPfEvbiT1_lT2_llS8_lllS7_lT3_llli.numbered_sgpr, 45
	.set _ZL19rocblas_spmv_kernelILi64ELi16EPKfPKS1_PKPfEvbiT1_lT2_llS8_lllS7_lT3_llli.num_named_barrier, 0
	.set _ZL19rocblas_spmv_kernelILi64ELi16EPKfPKS1_PKPfEvbiT1_lT2_llS8_lllS7_lT3_llli.private_seg_size, 0
	.set _ZL19rocblas_spmv_kernelILi64ELi16EPKfPKS1_PKPfEvbiT1_lT2_llS8_lllS7_lT3_llli.uses_vcc, 1
	.set _ZL19rocblas_spmv_kernelILi64ELi16EPKfPKS1_PKPfEvbiT1_lT2_llS8_lllS7_lT3_llli.uses_flat_scratch, 0
	.set _ZL19rocblas_spmv_kernelILi64ELi16EPKfPKS1_PKPfEvbiT1_lT2_llS8_lllS7_lT3_llli.has_dyn_sized_stack, 0
	.set _ZL19rocblas_spmv_kernelILi64ELi16EPKfPKS1_PKPfEvbiT1_lT2_llS8_lllS7_lT3_llli.has_recursion, 0
	.set _ZL19rocblas_spmv_kernelILi64ELi16EPKfPKS1_PKPfEvbiT1_lT2_llS8_lllS7_lT3_llli.has_indirect_call, 0
	.section	.AMDGPU.csdata,"",@progbits
; Kernel info:
; codeLenInByte = 1344
; TotalNumSgprs: 47
; NumVgprs: 19
; ScratchSize: 0
; MemoryBound: 0
; FloatMode: 240
; IeeeMode: 1
; LDSByteSize: 4096 bytes/workgroup (compile time only)
; SGPRBlocks: 0
; VGPRBlocks: 1
; NumSGPRsForWavesPerEU: 47
; NumVGPRsForWavesPerEU: 19
; NamedBarCnt: 0
; Occupancy: 16
; WaveLimiterHint : 1
; COMPUTE_PGM_RSRC2:SCRATCH_EN: 0
; COMPUTE_PGM_RSRC2:USER_SGPR: 2
; COMPUTE_PGM_RSRC2:TRAP_HANDLER: 0
; COMPUTE_PGM_RSRC2:TGID_X_EN: 1
; COMPUTE_PGM_RSRC2:TGID_Y_EN: 0
; COMPUTE_PGM_RSRC2:TGID_Z_EN: 1
; COMPUTE_PGM_RSRC2:TIDIG_COMP_CNT: 1
	.section	.text._ZL19rocblas_spmv_kernelILi64ELi16EfPKPKfPKPfEvbiT1_lT2_llS8_lllS7_lT3_llli,"axG",@progbits,_ZL19rocblas_spmv_kernelILi64ELi16EfPKPKfPKPfEvbiT1_lT2_llS8_lllS7_lT3_llli,comdat
	.globl	_ZL19rocblas_spmv_kernelILi64ELi16EfPKPKfPKPfEvbiT1_lT2_llS8_lllS7_lT3_llli ; -- Begin function _ZL19rocblas_spmv_kernelILi64ELi16EfPKPKfPKPfEvbiT1_lT2_llS8_lllS7_lT3_llli
	.p2align	8
	.type	_ZL19rocblas_spmv_kernelILi64ELi16EfPKPKfPKPfEvbiT1_lT2_llS8_lllS7_lT3_llli,@function
_ZL19rocblas_spmv_kernelILi64ELi16EfPKPKfPKPfEvbiT1_lT2_llS8_lllS7_lT3_llli: ; @_ZL19rocblas_spmv_kernelILi64ELi16EfPKPKfPKPfEvbiT1_lT2_llS8_lllS7_lT3_llli
; %bb.0:
	s_clause 0x1
	s_load_b64 s[4:5], s[0:1], 0x94
	s_load_b32 s19, s[0:1], 0x80
	s_bfe_u32 s2, ttmp6, 0x40014
	s_lshr_b32 s6, ttmp7, 16
	s_add_co_i32 s2, s2, 1
	s_bfe_u32 s3, ttmp6, 0x40008
	s_mul_i32 s7, s6, s2
	s_getreg_b32 s2, hwreg(HW_REG_IB_STS2, 6, 4)
	s_add_co_i32 s7, s3, s7
	s_mov_b32 s21, 0
	s_wait_kmcnt 0x0
	s_lshr_b32 s8, s4, 16
	s_and_b32 s3, s4, 0xffff
	s_and_b32 s4, s5, 0xffff
	s_mul_i32 s5, s8, s3
	s_cmp_eq_u32 s2, 0
	s_mul_i32 s5, s5, s4
	s_cselect_b32 s20, s6, s7
	s_cmp_lg_u32 s5, 0x400
	s_cselect_b32 s4, -1, 0
	s_cmp_ge_u32 s20, s19
	s_cselect_b32 s5, -1, 0
	s_delay_alu instid0(SALU_CYCLE_1) | instskip(NEXT) | instid1(SALU_CYCLE_1)
	s_or_b32 s4, s4, s5
	s_and_b32 vcc_lo, exec_lo, s4
	s_cbranch_vccnz .LBB5_36
; %bb.1:
	s_clause 0x1
	s_load_b96 s[16:18], s[0:1], 0x0
	s_load_b32 s30, s[0:1], 0x50
	v_and_b32_e32 v1, 0x3ff, v0
	v_bfe_u32 v0, v0, 10, 10
	s_clause 0x1
	s_load_b128 s[8:11], s[0:1], 0x38
	s_load_b128 s[12:15], s[0:1], 0x68
	s_delay_alu instid0(VALU_DEP_1) | instskip(NEXT) | instid1(VALU_DEP_1)
	v_mad_u32_u24 v8, v0, s3, v1
	v_dual_mov_b32 v1, 0 :: v_dual_lshrrev_b32 v0, 6, v8
	v_cmp_gt_u32_e32 vcc_lo, 64, v8
	v_lshlrev_b32_e32 v15, 2, v8
	s_wait_kmcnt 0x0
	s_bitcmp1_b32 s16, 0
	s_cselect_b32 s16, -1, 0
	s_delay_alu instid0(SALU_CYCLE_1)
	s_xor_b32 s31, s16, -1
	s_cmp_eq_f32 s18, 0
	s_cselect_b32 s33, -1, 0
	s_cmp_neq_f32 s30, 1.0
	s_cselect_b32 s4, -1, 0
	s_cmp_neq_f32 s18, 0
	s_cselect_b32 s3, -1, 0
	s_bfe_u32 s5, ttmp6, 0x4000c
	s_and_b32 s6, ttmp6, 15
	s_add_co_i32 s5, s5, 1
	s_or_b32 s34, s3, s4
	s_mul_i32 s5, ttmp9, s5
	v_cndmask_b32_e64 v14, 0, 1, s3
	s_add_co_i32 s6, s6, s5
	s_cmp_eq_u32 s2, 0
	s_cselect_b32 s2, ttmp9, s6
	s_load_b128 s[4:7], s[0:1], 0x18
	s_lshl_b32 s3, s2, 6
	v_mul_u64_e32 v[6:7], s[10:11], v[0:1]
	v_add_nc_u32_e32 v4, s3, v8
	v_and_or_b32 v1, v8, 63, s3
	s_mov_b32 s3, s21
	s_delay_alu instid0(VALU_DEP_2) | instskip(SKIP_1) | instid1(VALU_DEP_2)
	v_ashrrev_i32_e32 v5, 31, v4
	v_cmp_gt_i32_e64 s2, s17, v4
	v_mul_u64_e32 v[2:3], s[14:15], v[4:5]
	s_clause 0x1
	s_load_b64 s[14:15], s[0:1], 0x60
	s_load_b64 s[22:23], s[0:1], 0x30
	s_and_b32 s35, vcc_lo, s2
	s_cmp_neq_f32 s30, 0
	s_mov_b32 s2, s17
	s_wait_xcnt 0x0
	v_cmp_gt_i32_e64 s0, s17, v0
	v_cmp_gt_i32_e64 s1, s17, v1
	s_cselect_b32 s36, -1, 0
	s_lshl_b64 s[2:3], s[2:3], 1
	s_lshl_b64 s[10:11], s[10:11], 6
	s_or_b64 s[24:25], s[2:3], 1
	s_wait_kmcnt 0x0
	s_lshl_b64 s[6:7], s[6:7], 2
	s_lshl_b64 s[8:9], s[8:9], 2
	;; [unrolled: 1-line block ×3, first 2 shown]
	v_lshlrev_b64_e32 v[4:5], 2, v[6:7]
	s_branch .LBB5_4
.LBB5_2:                                ;   in Loop: Header=BB5_4 Depth=1
	s_wait_xcnt 0x0
	s_or_b32 exec_lo, exec_lo, s2
.LBB5_3:                                ;   in Loop: Header=BB5_4 Depth=1
	s_add_co_i32 s20, s20, 0x10000
	s_delay_alu instid0(SALU_CYCLE_1)
	s_cmp_lt_u32 s20, s19
	s_cbranch_scc0 .LBB5_36
.LBB5_4:                                ; =>This Loop Header: Depth=1
                                        ;     Child Loop BB5_23 Depth 2
	s_and_not1_b32 vcc_lo, exec_lo, s34
	s_cbranch_vccnz .LBB5_3
; %bb.5:                                ;   in Loop: Header=BB5_4 Depth=1
	s_and_not1_b32 vcc_lo, exec_lo, s33
	s_cbranch_vccnz .LBB5_7
; %bb.6:                                ;   in Loop: Header=BB5_4 Depth=1
	s_mov_b64 s[2:3], 0
	s_mov_b64 s[28:29], 0
	s_cbranch_execz .LBB5_8
	s_branch .LBB5_9
.LBB5_7:                                ;   in Loop: Header=BB5_4 Depth=1
	s_mov_b64 s[2:3], 0
	s_mov_b64 s[28:29], 0
.LBB5_8:                                ;   in Loop: Header=BB5_4 Depth=1
	s_lshl_b64 s[26:27], s[20:21], 3
	s_delay_alu instid0(SALU_CYCLE_1)
	s_add_nc_u64 s[26:27], s[4:5], s[26:27]
	s_load_b64 s[26:27], s[26:27], 0x0
	s_wait_kmcnt 0x0
	s_add_nc_u64 s[28:29], s[26:27], s[6:7]
.LBB5_9:                                ;   in Loop: Header=BB5_4 Depth=1
	v_cmp_ne_u32_e32 vcc_lo, 1, v14
	s_cbranch_vccnz .LBB5_11
; %bb.10:                               ;   in Loop: Header=BB5_4 Depth=1
	s_lshl_b64 s[2:3], s[20:21], 3
	s_delay_alu instid0(SALU_CYCLE_1)
	s_add_nc_u64 s[2:3], s[22:23], s[2:3]
	s_load_b64 s[2:3], s[2:3], 0x0
	s_wait_kmcnt 0x0
	s_wait_xcnt 0x0
	s_add_nc_u64 s[2:3], s[2:3], s[8:9]
.LBB5_11:                               ;   in Loop: Header=BB5_4 Depth=1
	s_wait_xcnt 0x0
	s_lshl_b64 s[26:27], s[20:21], 3
	s_and_not1_b32 vcc_lo, exec_lo, s33
	s_add_nc_u64 s[26:27], s[14:15], s[26:27]
	s_load_b64 s[26:27], s[26:27], 0x0
	s_wait_kmcnt 0x0
	s_wait_xcnt 0x0
	s_add_nc_u64 s[26:27], s[26:27], s[12:13]
	s_cbranch_vccnz .LBB5_15
; %bb.12:                               ;   in Loop: Header=BB5_4 Depth=1
	s_mov_b32 s38, 0
	s_mov_b32 s37, 0
                                        ; implicit-def: $vgpr6
	s_and_saveexec_b32 s39, s35
	s_cbranch_execz .LBB5_16
; %bb.13:                               ;   in Loop: Header=BB5_4 Depth=1
	s_and_not1_b32 vcc_lo, exec_lo, s36
	s_cbranch_vccnz .LBB5_17
; %bb.14:                               ;   in Loop: Header=BB5_4 Depth=1
	v_lshl_add_u64 v[6:7], v[2:3], 2, s[26:27]
	flat_load_b32 v6, v[6:7]
	s_wait_loadcnt_dscnt 0x0
	s_wait_xcnt 0x0
	v_mul_f32_e32 v6, s30, v6
	s_branch .LBB5_18
.LBB5_15:                               ;   in Loop: Header=BB5_4 Depth=1
	s_mov_b32 s37, 0
                                        ; implicit-def: $vgpr6
	s_cbranch_execnz .LBB5_19
	s_branch .LBB5_34
.LBB5_16:                               ;   in Loop: Header=BB5_4 Depth=1
	s_or_b32 exec_lo, exec_lo, s39
	s_delay_alu instid0(SALU_CYCLE_1)
	s_and_b32 vcc_lo, exec_lo, s38
	s_cbranch_vccnz .LBB5_19
	s_branch .LBB5_34
.LBB5_17:                               ;   in Loop: Header=BB5_4 Depth=1
	v_mov_b32_e32 v6, 0
.LBB5_18:                               ;   in Loop: Header=BB5_4 Depth=1
	s_mov_b32 s37, exec_lo
	s_or_b32 exec_lo, exec_lo, s39
	s_delay_alu instid0(SALU_CYCLE_1)
	s_and_b32 vcc_lo, exec_lo, s38
	s_cbranch_vccz .LBB5_34
.LBB5_19:                               ;   in Loop: Header=BB5_4 Depth=1
	v_mov_b32_e32 v16, 0
	s_and_saveexec_b32 s38, s0
	s_cbranch_execz .LBB5_29
; %bb.20:                               ;   in Loop: Header=BB5_4 Depth=1
	v_add_nc_u64_e32 v[6:7], s[2:3], v[4:5]
	v_dual_mov_b32 v16, 0 :: v_dual_mov_b32 v17, v0
	s_mov_b32 s3, 0
	s_branch .LBB5_23
.LBB5_21:                               ;   in Loop: Header=BB5_23 Depth=2
	s_delay_alu instid0(VALU_DEP_1) | instskip(NEXT) | instid1(VALU_DEP_2)
	v_mul_u64_e32 v[8:9], v[12:13], v[8:9]
	v_ashrrev_i32_e32 v11, 31, v10
	s_delay_alu instid0(VALU_DEP_2) | instskip(NEXT) | instid1(VALU_DEP_1)
	v_lshlrev_b64_e32 v[8:9], 1, v[8:9]
	v_and_b32_e32 v8, -4, v8
	s_delay_alu instid0(VALU_DEP_1) | instskip(NEXT) | instid1(VALU_DEP_1)
	v_add_nc_u64_e32 v[8:9], s[28:29], v[8:9]
	v_lshl_add_u64 v[8:9], v[10:11], 2, v[8:9]
	flat_load_b32 v10, v[8:9]
	flat_load_b32 v11, v[6:7]
	s_wait_loadcnt_dscnt 0x0
	v_fmac_f32_e32 v16, v10, v11
.LBB5_22:                               ;   in Loop: Header=BB5_23 Depth=2
	s_wait_xcnt 0x0
	s_or_b32 exec_lo, exec_lo, s39
	v_add_nc_u32_e32 v17, 16, v17
	v_add_nc_u64_e32 v[6:7], s[10:11], v[6:7]
	s_delay_alu instid0(VALU_DEP_2) | instskip(SKIP_1) | instid1(SALU_CYCLE_1)
	v_cmp_le_i32_e32 vcc_lo, s17, v17
	s_or_b32 s3, vcc_lo, s3
	s_and_not1_b32 exec_lo, exec_lo, s3
	s_cbranch_execz .LBB5_28
.LBB5_23:                               ;   Parent Loop BB5_4 Depth=1
                                        ; =>  This Inner Loop Header: Depth=2
	s_and_saveexec_b32 s39, s1
	s_cbranch_execz .LBB5_22
; %bb.24:                               ;   in Loop: Header=BB5_23 Depth=2
	v_cmp_le_i32_e32 vcc_lo, v1, v17
	v_cmp_ge_i32_e64 s2, v1, v17
                                        ; implicit-def: $vgpr12_vgpr13
                                        ; implicit-def: $vgpr10
	s_or_b32 s40, s31, vcc_lo
	s_or_b32 s2, s16, s2
	s_delay_alu instid0(SALU_CYCLE_1) | instskip(SKIP_4) | instid1(VALU_DEP_2)
	s_and_b32 vcc_lo, s40, s2
	s_mov_b32 s2, -1
	v_cndmask_b32_e32 v8, v1, v17, vcc_lo
	v_cndmask_b32_e32 v11, v17, v1, vcc_lo
	s_and_b32 vcc_lo, exec_lo, s31
	v_ashrrev_i32_e32 v9, 31, v8
	s_cbranch_vccz .LBB5_26
; %bb.25:                               ;   in Loop: Header=BB5_23 Depth=2
	s_delay_alu instid0(VALU_DEP_1)
	v_sub_nc_u64_e32 v[12:13], s[24:25], v[8:9]
	v_sub_nc_u32_e32 v10, v11, v8
	s_mov_b32 s2, 0
.LBB5_26:                               ;   in Loop: Header=BB5_23 Depth=2
	s_delay_alu instid0(SALU_CYCLE_1)
	s_and_not1_b32 vcc_lo, exec_lo, s2
	s_cbranch_vccnz .LBB5_21
; %bb.27:                               ;   in Loop: Header=BB5_23 Depth=2
	s_delay_alu instid0(VALU_DEP_1)
	v_add_nc_u64_e32 v[12:13], 1, v[8:9]
	v_mov_b32_e32 v10, v11
	s_branch .LBB5_21
.LBB5_28:                               ;   in Loop: Header=BB5_4 Depth=1
	s_or_b32 exec_lo, exec_lo, s3
.LBB5_29:                               ;   in Loop: Header=BB5_4 Depth=1
	s_delay_alu instid0(SALU_CYCLE_1)
	s_or_b32 exec_lo, exec_lo, s38
	ds_store_b32 v15, v16
	s_wait_dscnt 0x0
	s_barrier_signal -1
	s_barrier_wait -1
                                        ; implicit-def: $vgpr6
	s_and_saveexec_b32 s2, s35
	s_cbranch_execz .LBB5_33
; %bb.30:                               ;   in Loop: Header=BB5_4 Depth=1
	ds_load_2addr_stride64_b32 v[6:7], v15 offset1:1
	ds_load_2addr_stride64_b32 v[8:9], v15 offset0:2 offset1:3
	ds_load_2addr_stride64_b32 v[10:11], v15 offset0:4 offset1:5
	;; [unrolled: 1-line block ×3, first 2 shown]
	s_and_not1_b32 vcc_lo, exec_lo, s36
	s_wait_dscnt 0x3
	v_add_f32_e32 v6, v6, v7
	s_wait_dscnt 0x2
	s_delay_alu instid0(VALU_DEP_1) | instskip(NEXT) | instid1(VALU_DEP_1)
	v_add_f32_e32 v6, v8, v6
	v_add_f32_e32 v6, v9, v6
	s_wait_dscnt 0x1
	s_delay_alu instid0(VALU_DEP_1) | instskip(SKIP_3) | instid1(VALU_DEP_1)
	v_add_f32_e32 v8, v10, v6
	ds_load_2addr_stride64_b32 v[6:7], v15 offset0:8 offset1:9
	v_add_f32_e32 v8, v11, v8
	s_wait_dscnt 0x1
	v_add_f32_e32 v10, v12, v8
	ds_load_2addr_stride64_b32 v[8:9], v15 offset0:10 offset1:11
	v_add_f32_e32 v16, v13, v10
	ds_load_2addr_stride64_b32 v[10:11], v15 offset0:12 offset1:13
	ds_load_2addr_stride64_b32 v[12:13], v15 offset0:14 offset1:15
	s_wait_dscnt 0x3
	v_add_f32_e32 v6, v6, v16
	s_delay_alu instid0(VALU_DEP_1) | instskip(SKIP_1) | instid1(VALU_DEP_1)
	v_add_f32_e32 v6, v7, v6
	s_wait_dscnt 0x2
	v_add_f32_e32 v6, v8, v6
	s_delay_alu instid0(VALU_DEP_1) | instskip(SKIP_1) | instid1(VALU_DEP_1)
	v_add_f32_e32 v6, v9, v6
	;; [unrolled: 4-line block ×3, first 2 shown]
	s_wait_dscnt 0x0
	v_add_f32_e32 v6, v12, v6
	s_delay_alu instid0(VALU_DEP_1) | instskip(NEXT) | instid1(VALU_DEP_1)
	v_add_f32_e32 v7, v13, v6
	v_mul_f32_e32 v6, s18, v7
	ds_store_b32 v15, v7
	s_cbranch_vccnz .LBB5_32
; %bb.31:                               ;   in Loop: Header=BB5_4 Depth=1
	v_lshl_add_u64 v[8:9], v[2:3], 2, s[26:27]
	flat_load_b32 v7, v[8:9]
	s_wait_loadcnt_dscnt 0x0
	v_fmac_f32_e32 v6, s30, v7
.LBB5_32:                               ;   in Loop: Header=BB5_4 Depth=1
	s_or_b32 s37, s37, exec_lo
.LBB5_33:                               ;   in Loop: Header=BB5_4 Depth=1
	s_wait_xcnt 0x0
	s_or_b32 exec_lo, exec_lo, s2
.LBB5_34:                               ;   in Loop: Header=BB5_4 Depth=1
	s_and_saveexec_b32 s2, s37
	s_cbranch_execz .LBB5_2
; %bb.35:                               ;   in Loop: Header=BB5_4 Depth=1
	v_lshl_add_u64 v[8:9], v[2:3], 2, s[26:27]
	flat_store_b32 v[8:9], v6
	s_branch .LBB5_2
.LBB5_36:
	s_endpgm
	.section	.rodata,"a",@progbits
	.p2align	6, 0x0
	.amdhsa_kernel _ZL19rocblas_spmv_kernelILi64ELi16EfPKPKfPKPfEvbiT1_lT2_llS8_lllS7_lT3_llli
		.amdhsa_group_segment_fixed_size 4096
		.amdhsa_private_segment_fixed_size 0
		.amdhsa_kernarg_size 392
		.amdhsa_user_sgpr_count 2
		.amdhsa_user_sgpr_dispatch_ptr 0
		.amdhsa_user_sgpr_queue_ptr 0
		.amdhsa_user_sgpr_kernarg_segment_ptr 1
		.amdhsa_user_sgpr_dispatch_id 0
		.amdhsa_user_sgpr_kernarg_preload_length 0
		.amdhsa_user_sgpr_kernarg_preload_offset 0
		.amdhsa_user_sgpr_private_segment_size 0
		.amdhsa_wavefront_size32 1
		.amdhsa_uses_dynamic_stack 0
		.amdhsa_enable_private_segment 0
		.amdhsa_system_sgpr_workgroup_id_x 1
		.amdhsa_system_sgpr_workgroup_id_y 0
		.amdhsa_system_sgpr_workgroup_id_z 1
		.amdhsa_system_sgpr_workgroup_info 0
		.amdhsa_system_vgpr_workitem_id 1
		.amdhsa_next_free_vgpr 18
		.amdhsa_next_free_sgpr 41
		.amdhsa_named_barrier_count 0
		.amdhsa_reserve_vcc 1
		.amdhsa_float_round_mode_32 0
		.amdhsa_float_round_mode_16_64 0
		.amdhsa_float_denorm_mode_32 3
		.amdhsa_float_denorm_mode_16_64 3
		.amdhsa_fp16_overflow 0
		.amdhsa_memory_ordered 1
		.amdhsa_forward_progress 1
		.amdhsa_inst_pref_size 11
		.amdhsa_round_robin_scheduling 0
		.amdhsa_exception_fp_ieee_invalid_op 0
		.amdhsa_exception_fp_denorm_src 0
		.amdhsa_exception_fp_ieee_div_zero 0
		.amdhsa_exception_fp_ieee_overflow 0
		.amdhsa_exception_fp_ieee_underflow 0
		.amdhsa_exception_fp_ieee_inexact 0
		.amdhsa_exception_int_div_zero 0
	.end_amdhsa_kernel
	.section	.text._ZL19rocblas_spmv_kernelILi64ELi16EfPKPKfPKPfEvbiT1_lT2_llS8_lllS7_lT3_llli,"axG",@progbits,_ZL19rocblas_spmv_kernelILi64ELi16EfPKPKfPKPfEvbiT1_lT2_llS8_lllS7_lT3_llli,comdat
.Lfunc_end5:
	.size	_ZL19rocblas_spmv_kernelILi64ELi16EfPKPKfPKPfEvbiT1_lT2_llS8_lllS7_lT3_llli, .Lfunc_end5-_ZL19rocblas_spmv_kernelILi64ELi16EfPKPKfPKPfEvbiT1_lT2_llS8_lllS7_lT3_llli
                                        ; -- End function
	.set _ZL19rocblas_spmv_kernelILi64ELi16EfPKPKfPKPfEvbiT1_lT2_llS8_lllS7_lT3_llli.num_vgpr, 18
	.set _ZL19rocblas_spmv_kernelILi64ELi16EfPKPKfPKPfEvbiT1_lT2_llS8_lllS7_lT3_llli.num_agpr, 0
	.set _ZL19rocblas_spmv_kernelILi64ELi16EfPKPKfPKPfEvbiT1_lT2_llS8_lllS7_lT3_llli.numbered_sgpr, 41
	.set _ZL19rocblas_spmv_kernelILi64ELi16EfPKPKfPKPfEvbiT1_lT2_llS8_lllS7_lT3_llli.num_named_barrier, 0
	.set _ZL19rocblas_spmv_kernelILi64ELi16EfPKPKfPKPfEvbiT1_lT2_llS8_lllS7_lT3_llli.private_seg_size, 0
	.set _ZL19rocblas_spmv_kernelILi64ELi16EfPKPKfPKPfEvbiT1_lT2_llS8_lllS7_lT3_llli.uses_vcc, 1
	.set _ZL19rocblas_spmv_kernelILi64ELi16EfPKPKfPKPfEvbiT1_lT2_llS8_lllS7_lT3_llli.uses_flat_scratch, 0
	.set _ZL19rocblas_spmv_kernelILi64ELi16EfPKPKfPKPfEvbiT1_lT2_llS8_lllS7_lT3_llli.has_dyn_sized_stack, 0
	.set _ZL19rocblas_spmv_kernelILi64ELi16EfPKPKfPKPfEvbiT1_lT2_llS8_lllS7_lT3_llli.has_recursion, 0
	.set _ZL19rocblas_spmv_kernelILi64ELi16EfPKPKfPKPfEvbiT1_lT2_llS8_lllS7_lT3_llli.has_indirect_call, 0
	.section	.AMDGPU.csdata,"",@progbits
; Kernel info:
; codeLenInByte = 1304
; TotalNumSgprs: 43
; NumVgprs: 18
; ScratchSize: 0
; MemoryBound: 0
; FloatMode: 240
; IeeeMode: 1
; LDSByteSize: 4096 bytes/workgroup (compile time only)
; SGPRBlocks: 0
; VGPRBlocks: 1
; NumSGPRsForWavesPerEU: 43
; NumVGPRsForWavesPerEU: 18
; NamedBarCnt: 0
; Occupancy: 16
; WaveLimiterHint : 1
; COMPUTE_PGM_RSRC2:SCRATCH_EN: 0
; COMPUTE_PGM_RSRC2:USER_SGPR: 2
; COMPUTE_PGM_RSRC2:TRAP_HANDLER: 0
; COMPUTE_PGM_RSRC2:TGID_X_EN: 1
; COMPUTE_PGM_RSRC2:TGID_Y_EN: 0
; COMPUTE_PGM_RSRC2:TGID_Z_EN: 1
; COMPUTE_PGM_RSRC2:TIDIG_COMP_CNT: 1
	.section	.text._ZL19rocblas_spmv_kernelILi64ELi16EPKdPKS1_PKPdEvbiT1_lT2_llS8_lllS7_lT3_llli,"axG",@progbits,_ZL19rocblas_spmv_kernelILi64ELi16EPKdPKS1_PKPdEvbiT1_lT2_llS8_lllS7_lT3_llli,comdat
	.globl	_ZL19rocblas_spmv_kernelILi64ELi16EPKdPKS1_PKPdEvbiT1_lT2_llS8_lllS7_lT3_llli ; -- Begin function _ZL19rocblas_spmv_kernelILi64ELi16EPKdPKS1_PKPdEvbiT1_lT2_llS8_lllS7_lT3_llli
	.p2align	8
	.type	_ZL19rocblas_spmv_kernelILi64ELi16EPKdPKS1_PKPdEvbiT1_lT2_llS8_lllS7_lT3_llli,@function
_ZL19rocblas_spmv_kernelILi64ELi16EPKdPKS1_PKPdEvbiT1_lT2_llS8_lllS7_lT3_llli: ; @_ZL19rocblas_spmv_kernelILi64ELi16EPKdPKS1_PKPdEvbiT1_lT2_llS8_lllS7_lT3_llli
; %bb.0:
	s_clause 0x1
	s_load_b64 s[4:5], s[0:1], 0x94
	s_load_b32 s33, s[0:1], 0x80
	s_bfe_u32 s2, ttmp6, 0x40014
	s_lshr_b32 s6, ttmp7, 16
	s_add_co_i32 s2, s2, 1
	s_bfe_u32 s3, ttmp6, 0x40008
	s_mul_i32 s7, s6, s2
	s_getreg_b32 s2, hwreg(HW_REG_IB_STS2, 6, 4)
	s_add_co_i32 s7, s3, s7
	s_mov_b32 s25, 0
	s_wait_kmcnt 0x0
	s_lshr_b32 s8, s4, 16
	s_and_b32 s3, s4, 0xffff
	s_and_b32 s4, s5, 0xffff
	s_mul_i32 s5, s8, s3
	s_cmp_eq_u32 s2, 0
	s_mul_i32 s5, s5, s4
	s_cselect_b32 s24, s6, s7
	s_cmp_lg_u32 s5, 0x400
	s_cselect_b32 s4, -1, 0
	s_cmp_ge_u32 s24, s33
	s_cselect_b32 s5, -1, 0
	s_delay_alu instid0(SALU_CYCLE_1) | instskip(NEXT) | instid1(SALU_CYCLE_1)
	s_or_b32 s4, s4, s5
	s_and_b32 vcc_lo, exec_lo, s4
	s_cbranch_vccnz .LBB6_33
; %bb.1:
	s_clause 0x1
	s_load_b64 s[26:27], s[0:1], 0x0
	s_load_b128 s[16:19], s[0:1], 0x38
	v_and_b32_e32 v1, 0x3ff, v0
	v_bfe_u32 v0, v0, 10, 10
	s_load_b128 s[20:23], s[0:1], 0x68
	s_delay_alu instid0(VALU_DEP_1) | instskip(NEXT) | instid1(VALU_DEP_1)
	v_mad_u32_u24 v8, v0, s3, v1
	v_dual_mov_b32 v1, 0 :: v_dual_lshrrev_b32 v0, 6, v8
	v_cmp_gt_u32_e32 vcc_lo, 64, v8
	v_lshlrev_b32_e32 v21, 3, v8
	s_wait_kmcnt 0x0
	s_bitcmp1_b32 s26, 0
	v_mul_u64_e32 v[6:7], s[18:19], v[0:1]
	s_cselect_b32 s26, -1, 0
	s_bfe_u32 s4, ttmp6, 0x4000c
	s_and_b32 s3, ttmp6, 15
	s_add_co_i32 s4, s4, 1
	s_xor_b32 s40, s26, -1
	s_mul_i32 s4, ttmp9, s4
	s_delay_alu instid0(SALU_CYCLE_1)
	s_add_co_i32 s3, s3, s4
	s_cmp_eq_u32 s2, 0
	s_cselect_b32 s2, ttmp9, s3
	s_mov_b32 s3, s25
	s_lshl_b32 s2, s2, 6
	s_lshl_b64 s[18:19], s[18:19], 7
	v_add_nc_u32_e32 v4, s2, v8
	v_and_or_b32 v20, v8, 63, s2
	s_mov_b32 s2, s27
	s_lshl_b64 s[16:17], s[16:17], 3
	s_lshl_b64 s[2:3], s[2:3], 1
	v_ashrrev_i32_e32 v5, 31, v4
	s_or_b64 s[30:31], s[2:3], 1
	s_lshl_b64 s[20:21], s[20:21], 3
	s_delay_alu instid0(VALU_DEP_1)
	v_mul_u64_e32 v[2:3], s[22:23], v[4:5]
	s_clause 0x3
	s_load_b64 s[22:23], s[0:1], 0x30
	s_load_b256 s[4:11], s[0:1], 0x8
	s_load_b64 s[28:29], s[0:1], 0x60
	s_load_b128 s[12:15], s[0:1], 0x50
	s_wait_xcnt 0x0
	v_cmp_gt_i32_e64 s0, s27, v4
	v_cmp_gt_i32_e64 s1, s27, v20
	s_and_b32 s41, vcc_lo, s0
	v_lshlrev_b64_e32 v[4:5], 3, v[6:7]
	v_cmp_gt_i32_e64 s0, s27, v0
	s_wait_kmcnt 0x0
	s_lshl_b64 s[10:11], s[10:11], 3
	s_branch .LBB6_4
.LBB6_2:                                ;   in Loop: Header=BB6_4 Depth=1
	s_wait_xcnt 0x0
	s_or_b32 exec_lo, exec_lo, s2
.LBB6_3:                                ;   in Loop: Header=BB6_4 Depth=1
	s_add_co_i32 s24, s24, 0x10000
	s_delay_alu instid0(SALU_CYCLE_1)
	s_cmp_lt_u32 s24, s33
	s_cbranch_scc0 .LBB6_33
.LBB6_4:                                ; =>This Loop Header: Depth=1
                                        ;     Child Loop BB6_20 Depth 2
	s_mul_u64 s[2:3], s[6:7], s[24:25]
	s_wait_xcnt 0x0
	s_mul_u64 s[34:35], s[14:15], s[24:25]
	s_lshl_b64 s[2:3], s[2:3], 3
	s_lshl_b64 s[34:35], s[34:35], 3
	s_add_nc_u64 s[2:3], s[4:5], s[2:3]
	s_add_nc_u64 s[34:35], s[12:13], s[34:35]
	s_clause 0x1
	global_load_b64 v[8:9], v1, s[2:3]
	global_load_b64 v[6:7], v1, s[34:35]
	s_wait_loadcnt 0x1
	s_wait_xcnt 0x1
	v_cmp_eq_f64_e64 s2, 0, v[8:9]
	s_wait_loadcnt 0x0
	v_cmp_eq_f64_e32 vcc_lo, 1.0, v[6:7]
	s_and_b32 s3, s2, vcc_lo
	s_delay_alu instid0(SALU_CYCLE_1)
	s_and_b32 vcc_lo, exec_lo, s3
	s_cbranch_vccnz .LBB6_3
; %bb.5:                                ;   in Loop: Header=BB6_4 Depth=1
	v_cmp_neq_f64_e64 s3, 0, v[8:9]
	s_mov_b64 s[38:39], 0
	s_and_b32 vcc_lo, exec_lo, s2
	s_mov_b64 s[36:37], 0
	s_cbranch_vccnz .LBB6_7
; %bb.6:                                ;   in Loop: Header=BB6_4 Depth=1
	s_wait_xcnt 0x0
	s_lshl_b64 s[34:35], s[24:25], 3
	s_delay_alu instid0(SALU_CYCLE_1)
	s_add_nc_u64 s[34:35], s[8:9], s[34:35]
	s_load_b64 s[34:35], s[34:35], 0x0
	s_wait_kmcnt 0x0
	s_add_nc_u64 s[36:37], s[34:35], s[10:11]
.LBB6_7:                                ;   in Loop: Header=BB6_4 Depth=1
	s_and_not1_b32 vcc_lo, exec_lo, s3
	s_cbranch_vccnz .LBB6_9
; %bb.8:                                ;   in Loop: Header=BB6_4 Depth=1
	s_wait_xcnt 0x0
	s_lshl_b64 s[34:35], s[24:25], 3
	s_delay_alu instid0(SALU_CYCLE_1)
	s_add_nc_u64 s[34:35], s[22:23], s[34:35]
	s_load_b64 s[34:35], s[34:35], 0x0
	s_wait_kmcnt 0x0
	s_add_nc_u64 s[38:39], s[34:35], s[16:17]
.LBB6_9:                                ;   in Loop: Header=BB6_4 Depth=1
	s_wait_xcnt 0x0
	s_lshl_b64 s[34:35], s[24:25], 3
	s_and_not1_b32 vcc_lo, exec_lo, s2
	s_add_nc_u64 s[34:35], s[28:29], s[34:35]
	s_load_b64 s[34:35], s[34:35], 0x0
	s_wait_kmcnt 0x0
	s_wait_xcnt 0x0
	s_add_nc_u64 s[34:35], s[34:35], s[20:21]
	s_cbranch_vccnz .LBB6_14
; %bb.10:                               ;   in Loop: Header=BB6_4 Depth=1
	s_mov_b32 s2, 0
	s_mov_b32 s3, 0
                                        ; implicit-def: $vgpr10_vgpr11
	s_and_saveexec_b32 s42, s41
	s_cbranch_execz .LBB6_15
; %bb.11:                               ;   in Loop: Header=BB6_4 Depth=1
	v_cmp_eq_f64_e32 vcc_lo, 0, v[6:7]
	v_mov_b64_e32 v[10:11], 0
	s_cbranch_vccnz .LBB6_13
; %bb.12:                               ;   in Loop: Header=BB6_4 Depth=1
	v_lshl_add_u64 v[10:11], v[2:3], 3, s[34:35]
	flat_load_b64 v[10:11], v[10:11]
	s_wait_loadcnt_dscnt 0x0
	s_wait_xcnt 0x0
	v_mul_f64_e32 v[10:11], v[6:7], v[10:11]
.LBB6_13:                               ;   in Loop: Header=BB6_4 Depth=1
	s_mov_b32 s3, exec_lo
	s_or_b32 exec_lo, exec_lo, s42
	s_delay_alu instid0(SALU_CYCLE_1)
	s_and_b32 vcc_lo, exec_lo, s2
	s_cbranch_vccnz .LBB6_16
	s_branch .LBB6_31
.LBB6_14:                               ;   in Loop: Header=BB6_4 Depth=1
	s_mov_b32 s3, 0
                                        ; implicit-def: $vgpr10_vgpr11
	s_cbranch_execnz .LBB6_16
	s_branch .LBB6_31
.LBB6_15:                               ;   in Loop: Header=BB6_4 Depth=1
	s_or_b32 exec_lo, exec_lo, s42
	s_delay_alu instid0(SALU_CYCLE_1)
	s_and_b32 vcc_lo, exec_lo, s2
	s_cbranch_vccz .LBB6_31
.LBB6_16:                               ;   in Loop: Header=BB6_4 Depth=1
	v_mov_b64_e32 v[10:11], 0
	s_and_saveexec_b32 s42, s0
	s_cbranch_execz .LBB6_26
; %bb.17:                               ;   in Loop: Header=BB6_4 Depth=1
	v_add_nc_u64_e32 v[12:13], s[38:39], v[4:5]
	v_mov_b64_e32 v[10:11], 0
	v_mov_b32_e32 v22, v0
	s_mov_b32 s38, 0
	s_branch .LBB6_20
.LBB6_18:                               ;   in Loop: Header=BB6_20 Depth=2
	s_delay_alu instid0(VALU_DEP_1) | instskip(NEXT) | instid1(VALU_DEP_2)
	v_mul_u64_e32 v[14:15], v[18:19], v[14:15]
	v_ashrrev_i32_e32 v17, 31, v16
	s_delay_alu instid0(VALU_DEP_2) | instskip(NEXT) | instid1(VALU_DEP_1)
	v_lshlrev_b64_e32 v[14:15], 2, v[14:15]
	v_and_b32_e32 v14, -8, v14
	s_delay_alu instid0(VALU_DEP_1) | instskip(NEXT) | instid1(VALU_DEP_1)
	v_add_nc_u64_e32 v[14:15], s[36:37], v[14:15]
	v_lshl_add_u64 v[14:15], v[16:17], 3, v[14:15]
	flat_load_b64 v[16:17], v[14:15]
	flat_load_b64 v[18:19], v[12:13]
	s_wait_loadcnt_dscnt 0x0
	v_fmac_f64_e32 v[10:11], v[16:17], v[18:19]
.LBB6_19:                               ;   in Loop: Header=BB6_20 Depth=2
	s_wait_xcnt 0x0
	s_or_b32 exec_lo, exec_lo, s39
	v_add_nc_u32_e32 v22, 16, v22
	v_add_nc_u64_e32 v[12:13], s[18:19], v[12:13]
	s_delay_alu instid0(VALU_DEP_2) | instskip(SKIP_1) | instid1(SALU_CYCLE_1)
	v_cmp_le_i32_e32 vcc_lo, s27, v22
	s_or_b32 s38, vcc_lo, s38
	s_and_not1_b32 exec_lo, exec_lo, s38
	s_cbranch_execz .LBB6_25
.LBB6_20:                               ;   Parent Loop BB6_4 Depth=1
                                        ; =>  This Inner Loop Header: Depth=2
	s_and_saveexec_b32 s39, s1
	s_cbranch_execz .LBB6_19
; %bb.21:                               ;   in Loop: Header=BB6_20 Depth=2
	v_cmp_le_i32_e32 vcc_lo, v20, v22
	v_cmp_ge_i32_e64 s2, v20, v22
                                        ; implicit-def: $vgpr18_vgpr19
                                        ; implicit-def: $vgpr16
	s_or_b32 s43, s40, vcc_lo
	s_or_b32 s2, s26, s2
	s_delay_alu instid0(SALU_CYCLE_1) | instskip(SKIP_3) | instid1(VALU_DEP_1)
	s_and_b32 vcc_lo, s43, s2
	s_mov_b32 s2, -1
	v_dual_cndmask_b32 v17, v22, v20 :: v_dual_cndmask_b32 v14, v20, v22
	s_and_b32 vcc_lo, exec_lo, s40
	v_ashrrev_i32_e32 v15, 31, v14
	s_cbranch_vccz .LBB6_23
; %bb.22:                               ;   in Loop: Header=BB6_20 Depth=2
	s_delay_alu instid0(VALU_DEP_1)
	v_sub_nc_u64_e32 v[18:19], s[30:31], v[14:15]
	v_sub_nc_u32_e32 v16, v17, v14
	s_mov_b32 s2, 0
.LBB6_23:                               ;   in Loop: Header=BB6_20 Depth=2
	s_delay_alu instid0(SALU_CYCLE_1)
	s_and_not1_b32 vcc_lo, exec_lo, s2
	s_cbranch_vccnz .LBB6_18
; %bb.24:                               ;   in Loop: Header=BB6_20 Depth=2
	s_delay_alu instid0(VALU_DEP_1)
	v_add_nc_u64_e32 v[18:19], 1, v[14:15]
	v_mov_b32_e32 v16, v17
	s_branch .LBB6_18
.LBB6_25:                               ;   in Loop: Header=BB6_4 Depth=1
	s_or_b32 exec_lo, exec_lo, s38
.LBB6_26:                               ;   in Loop: Header=BB6_4 Depth=1
	s_delay_alu instid0(SALU_CYCLE_1)
	s_or_b32 exec_lo, exec_lo, s42
	ds_store_b64 v21, v[10:11]
	s_wait_dscnt 0x0
	s_barrier_signal -1
	s_barrier_wait -1
                                        ; implicit-def: $vgpr10_vgpr11
	s_and_saveexec_b32 s2, s41
	s_cbranch_execz .LBB6_30
; %bb.27:                               ;   in Loop: Header=BB6_4 Depth=1
	ds_load_2addr_stride64_b64 v[10:13], v21 offset1:1
	ds_load_2addr_stride64_b64 v[14:17], v21 offset0:2 offset1:3
	v_cmp_eq_f64_e32 vcc_lo, 0, v[6:7]
	s_wait_dscnt 0x1
	v_add_f64_e32 v[10:11], v[10:11], v[12:13]
	s_and_b32 vcc_lo, exec_lo, vcc_lo
	s_wait_dscnt 0x0
	s_delay_alu instid0(VALU_DEP_1) | instskip(NEXT) | instid1(VALU_DEP_1)
	v_add_f64_e32 v[10:11], v[14:15], v[10:11]
	v_add_f64_e32 v[18:19], v[16:17], v[10:11]
	ds_load_2addr_stride64_b64 v[10:13], v21 offset0:4 offset1:5
	ds_load_2addr_stride64_b64 v[14:17], v21 offset0:6 offset1:7
	s_wait_dscnt 0x1
	v_add_f64_e32 v[10:11], v[10:11], v[18:19]
	s_delay_alu instid0(VALU_DEP_1) | instskip(SKIP_1) | instid1(VALU_DEP_1)
	v_add_f64_e32 v[10:11], v[12:13], v[10:11]
	s_wait_dscnt 0x0
	v_add_f64_e32 v[10:11], v[14:15], v[10:11]
	s_delay_alu instid0(VALU_DEP_1) | instskip(SKIP_4) | instid1(VALU_DEP_1)
	v_add_f64_e32 v[18:19], v[16:17], v[10:11]
	ds_load_2addr_stride64_b64 v[10:13], v21 offset0:8 offset1:9
	ds_load_2addr_stride64_b64 v[14:17], v21 offset0:10 offset1:11
	s_wait_dscnt 0x1
	v_add_f64_e32 v[10:11], v[10:11], v[18:19]
	v_add_f64_e32 v[10:11], v[12:13], v[10:11]
	s_wait_dscnt 0x0
	s_delay_alu instid0(VALU_DEP_1) | instskip(NEXT) | instid1(VALU_DEP_1)
	v_add_f64_e32 v[10:11], v[14:15], v[10:11]
	v_add_f64_e32 v[18:19], v[16:17], v[10:11]
	ds_load_2addr_stride64_b64 v[10:13], v21 offset0:12 offset1:13
	ds_load_2addr_stride64_b64 v[14:17], v21 offset0:14 offset1:15
	s_wait_dscnt 0x1
	v_add_f64_e32 v[10:11], v[10:11], v[18:19]
	s_delay_alu instid0(VALU_DEP_1) | instskip(SKIP_1) | instid1(VALU_DEP_1)
	v_add_f64_e32 v[10:11], v[12:13], v[10:11]
	s_wait_dscnt 0x0
	v_add_f64_e32 v[10:11], v[14:15], v[10:11]
	s_delay_alu instid0(VALU_DEP_1) | instskip(NEXT) | instid1(VALU_DEP_1)
	v_add_f64_e32 v[12:13], v[16:17], v[10:11]
	v_mul_f64_e32 v[10:11], v[8:9], v[12:13]
	ds_store_b64 v21, v[12:13]
	s_cbranch_vccnz .LBB6_29
; %bb.28:                               ;   in Loop: Header=BB6_4 Depth=1
	v_lshl_add_u64 v[8:9], v[2:3], 3, s[34:35]
	flat_load_b64 v[8:9], v[8:9]
	s_wait_loadcnt_dscnt 0x0
	v_fmac_f64_e32 v[10:11], v[6:7], v[8:9]
.LBB6_29:                               ;   in Loop: Header=BB6_4 Depth=1
	s_or_b32 s3, s3, exec_lo
.LBB6_30:                               ;   in Loop: Header=BB6_4 Depth=1
	s_wait_xcnt 0x0
	s_or_b32 exec_lo, exec_lo, s2
.LBB6_31:                               ;   in Loop: Header=BB6_4 Depth=1
	s_and_saveexec_b32 s2, s3
	s_cbranch_execz .LBB6_2
; %bb.32:                               ;   in Loop: Header=BB6_4 Depth=1
	v_lshl_add_u64 v[6:7], v[2:3], 3, s[34:35]
	flat_store_b64 v[6:7], v[10:11]
	s_branch .LBB6_2
.LBB6_33:
	s_endpgm
	.section	.rodata,"a",@progbits
	.p2align	6, 0x0
	.amdhsa_kernel _ZL19rocblas_spmv_kernelILi64ELi16EPKdPKS1_PKPdEvbiT1_lT2_llS8_lllS7_lT3_llli
		.amdhsa_group_segment_fixed_size 8192
		.amdhsa_private_segment_fixed_size 0
		.amdhsa_kernarg_size 392
		.amdhsa_user_sgpr_count 2
		.amdhsa_user_sgpr_dispatch_ptr 0
		.amdhsa_user_sgpr_queue_ptr 0
		.amdhsa_user_sgpr_kernarg_segment_ptr 1
		.amdhsa_user_sgpr_dispatch_id 0
		.amdhsa_user_sgpr_kernarg_preload_length 0
		.amdhsa_user_sgpr_kernarg_preload_offset 0
		.amdhsa_user_sgpr_private_segment_size 0
		.amdhsa_wavefront_size32 1
		.amdhsa_uses_dynamic_stack 0
		.amdhsa_enable_private_segment 0
		.amdhsa_system_sgpr_workgroup_id_x 1
		.amdhsa_system_sgpr_workgroup_id_y 0
		.amdhsa_system_sgpr_workgroup_id_z 1
		.amdhsa_system_sgpr_workgroup_info 0
		.amdhsa_system_vgpr_workitem_id 1
		.amdhsa_next_free_vgpr 23
		.amdhsa_next_free_sgpr 44
		.amdhsa_named_barrier_count 0
		.amdhsa_reserve_vcc 1
		.amdhsa_float_round_mode_32 0
		.amdhsa_float_round_mode_16_64 0
		.amdhsa_float_denorm_mode_32 3
		.amdhsa_float_denorm_mode_16_64 3
		.amdhsa_fp16_overflow 0
		.amdhsa_memory_ordered 1
		.amdhsa_forward_progress 1
		.amdhsa_inst_pref_size 11
		.amdhsa_round_robin_scheduling 0
		.amdhsa_exception_fp_ieee_invalid_op 0
		.amdhsa_exception_fp_denorm_src 0
		.amdhsa_exception_fp_ieee_div_zero 0
		.amdhsa_exception_fp_ieee_overflow 0
		.amdhsa_exception_fp_ieee_underflow 0
		.amdhsa_exception_fp_ieee_inexact 0
		.amdhsa_exception_int_div_zero 0
	.end_amdhsa_kernel
	.section	.text._ZL19rocblas_spmv_kernelILi64ELi16EPKdPKS1_PKPdEvbiT1_lT2_llS8_lllS7_lT3_llli,"axG",@progbits,_ZL19rocblas_spmv_kernelILi64ELi16EPKdPKS1_PKPdEvbiT1_lT2_llS8_lllS7_lT3_llli,comdat
.Lfunc_end6:
	.size	_ZL19rocblas_spmv_kernelILi64ELi16EPKdPKS1_PKPdEvbiT1_lT2_llS8_lllS7_lT3_llli, .Lfunc_end6-_ZL19rocblas_spmv_kernelILi64ELi16EPKdPKS1_PKPdEvbiT1_lT2_llS8_lllS7_lT3_llli
                                        ; -- End function
	.set _ZL19rocblas_spmv_kernelILi64ELi16EPKdPKS1_PKPdEvbiT1_lT2_llS8_lllS7_lT3_llli.num_vgpr, 23
	.set _ZL19rocblas_spmv_kernelILi64ELi16EPKdPKS1_PKPdEvbiT1_lT2_llS8_lllS7_lT3_llli.num_agpr, 0
	.set _ZL19rocblas_spmv_kernelILi64ELi16EPKdPKS1_PKPdEvbiT1_lT2_llS8_lllS7_lT3_llli.numbered_sgpr, 44
	.set _ZL19rocblas_spmv_kernelILi64ELi16EPKdPKS1_PKPdEvbiT1_lT2_llS8_lllS7_lT3_llli.num_named_barrier, 0
	.set _ZL19rocblas_spmv_kernelILi64ELi16EPKdPKS1_PKPdEvbiT1_lT2_llS8_lllS7_lT3_llli.private_seg_size, 0
	.set _ZL19rocblas_spmv_kernelILi64ELi16EPKdPKS1_PKPdEvbiT1_lT2_llS8_lllS7_lT3_llli.uses_vcc, 1
	.set _ZL19rocblas_spmv_kernelILi64ELi16EPKdPKS1_PKPdEvbiT1_lT2_llS8_lllS7_lT3_llli.uses_flat_scratch, 0
	.set _ZL19rocblas_spmv_kernelILi64ELi16EPKdPKS1_PKPdEvbiT1_lT2_llS8_lllS7_lT3_llli.has_dyn_sized_stack, 0
	.set _ZL19rocblas_spmv_kernelILi64ELi16EPKdPKS1_PKPdEvbiT1_lT2_llS8_lllS7_lT3_llli.has_recursion, 0
	.set _ZL19rocblas_spmv_kernelILi64ELi16EPKdPKS1_PKPdEvbiT1_lT2_llS8_lllS7_lT3_llli.has_indirect_call, 0
	.section	.AMDGPU.csdata,"",@progbits
; Kernel info:
; codeLenInByte = 1340
; TotalNumSgprs: 46
; NumVgprs: 23
; ScratchSize: 0
; MemoryBound: 0
; FloatMode: 240
; IeeeMode: 1
; LDSByteSize: 8192 bytes/workgroup (compile time only)
; SGPRBlocks: 0
; VGPRBlocks: 1
; NumSGPRsForWavesPerEU: 46
; NumVGPRsForWavesPerEU: 23
; NamedBarCnt: 0
; Occupancy: 16
; WaveLimiterHint : 1
; COMPUTE_PGM_RSRC2:SCRATCH_EN: 0
; COMPUTE_PGM_RSRC2:USER_SGPR: 2
; COMPUTE_PGM_RSRC2:TRAP_HANDLER: 0
; COMPUTE_PGM_RSRC2:TGID_X_EN: 1
; COMPUTE_PGM_RSRC2:TGID_Y_EN: 0
; COMPUTE_PGM_RSRC2:TGID_Z_EN: 1
; COMPUTE_PGM_RSRC2:TIDIG_COMP_CNT: 1
	.section	.text._ZL19rocblas_spmv_kernelILi64ELi16EdPKPKdPKPdEvbiT1_lT2_llS8_lllS7_lT3_llli,"axG",@progbits,_ZL19rocblas_spmv_kernelILi64ELi16EdPKPKdPKPdEvbiT1_lT2_llS8_lllS7_lT3_llli,comdat
	.globl	_ZL19rocblas_spmv_kernelILi64ELi16EdPKPKdPKPdEvbiT1_lT2_llS8_lllS7_lT3_llli ; -- Begin function _ZL19rocblas_spmv_kernelILi64ELi16EdPKPKdPKPdEvbiT1_lT2_llS8_lllS7_lT3_llli
	.p2align	8
	.type	_ZL19rocblas_spmv_kernelILi64ELi16EdPKPKdPKPdEvbiT1_lT2_llS8_lllS7_lT3_llli,@function
_ZL19rocblas_spmv_kernelILi64ELi16EdPKPKdPKPdEvbiT1_lT2_llS8_lllS7_lT3_llli: ; @_ZL19rocblas_spmv_kernelILi64ELi16EdPKPKdPKPdEvbiT1_lT2_llS8_lllS7_lT3_llli
; %bb.0:
	s_clause 0x1
	s_load_b64 s[4:5], s[0:1], 0x94
	s_load_b32 s33, s[0:1], 0x80
	s_bfe_u32 s2, ttmp6, 0x40014
	s_lshr_b32 s6, ttmp7, 16
	s_add_co_i32 s2, s2, 1
	s_bfe_u32 s3, ttmp6, 0x40008
	s_mul_i32 s7, s6, s2
	s_getreg_b32 s2, hwreg(HW_REG_IB_STS2, 6, 4)
	s_add_co_i32 s7, s3, s7
	s_mov_b32 s21, 0
	s_wait_kmcnt 0x0
	s_lshr_b32 s8, s4, 16
	s_and_b32 s3, s4, 0xffff
	s_and_b32 s4, s5, 0xffff
	s_mul_i32 s5, s8, s3
	s_cmp_eq_u32 s2, 0
	s_mul_i32 s5, s5, s4
	s_cselect_b32 s20, s6, s7
	s_cmp_lg_u32 s5, 0x400
	s_cselect_b32 s4, -1, 0
	s_cmp_ge_u32 s20, s33
	s_cselect_b32 s5, -1, 0
	s_delay_alu instid0(SALU_CYCLE_1) | instskip(NEXT) | instid1(SALU_CYCLE_1)
	s_or_b32 s4, s4, s5
	s_and_b32 vcc_lo, exec_lo, s4
	s_cbranch_vccnz .LBB7_36
; %bb.1:
	s_clause 0x1
	s_load_b64 s[22:23], s[0:1], 0x50
	s_load_b128 s[4:7], s[0:1], 0x0
	v_and_b32_e32 v1, 0x3ff, v0
	v_bfe_u32 v0, v0, 10, 10
	s_clause 0x1
	s_load_b128 s[12:15], s[0:1], 0x38
	s_load_b128 s[16:19], s[0:1], 0x68
	s_delay_alu instid0(VALU_DEP_1) | instskip(NEXT) | instid1(VALU_DEP_1)
	v_mad_u32_u24 v8, v0, s3, v1
	v_dual_mov_b32 v1, 0 :: v_dual_lshrrev_b32 v0, 6, v8
	v_cmp_gt_u32_e32 vcc_lo, 64, v8
	v_lshlrev_b32_e32 v17, 3, v8
	s_wait_kmcnt 0x0
	v_cmp_neq_f64_e64 s8, s[22:23], 1.0
	v_cmp_neq_f64_e64 s9, s[6:7], 0
	s_bitcmp1_b32 s4, 0
	v_mul_u64_e32 v[4:5], s[14:15], v[0:1]
	s_cselect_b32 s4, -1, 0
	s_bfe_u32 s3, ttmp6, 0x4000c
	s_and_b32 s10, ttmp6, 15
	s_add_co_i32 s3, s3, 1
	s_xor_b32 s34, s4, -1
	s_mul_i32 s3, ttmp9, s3
	v_cmp_eq_f64_e64 s37, s[6:7], 0
	s_add_co_i32 s10, s10, s3
	v_cmp_neq_f64_e64 s38, s[22:23], 0
	s_or_b32 s35, s9, s8
	s_cmp_eq_u32 s2, 0
	v_cndmask_b32_e64 v16, 0, 1, s9
	s_cselect_b32 s2, ttmp9, s10
	v_lshlrev_b64_e32 v[4:5], 3, v[4:5]
	s_lshl_b32 s3, s2, 6
	s_lshl_b64 s[14:15], s[14:15], 7
	v_add_nc_u32_e32 v6, s3, v8
	v_and_or_b32 v1, v8, 63, s3
	s_mov_b32 s3, s21
	s_lshl_b64 s[12:13], s[12:13], 3
	s_lshl_b64 s[16:17], s[16:17], 3
	v_ashrrev_i32_e32 v7, 31, v6
	v_cmp_gt_i32_e64 s2, s5, v6
	s_delay_alu instid0(VALU_DEP_2)
	v_mul_u64_e32 v[2:3], s[18:19], v[6:7]
	s_clause 0x2
	s_load_b128 s[8:11], s[0:1], 0x18
	s_load_b64 s[18:19], s[0:1], 0x60
	s_load_b64 s[24:25], s[0:1], 0x30
	s_and_b32 s36, vcc_lo, s2
	s_mov_b32 s2, s5
	s_wait_xcnt 0x0
	v_cmp_gt_i32_e64 s0, s5, v0
	v_cmp_gt_i32_e64 s1, s5, v1
	s_lshl_b64 s[2:3], s[2:3], 1
	s_delay_alu instid0(SALU_CYCLE_1)
	s_or_b64 s[26:27], s[2:3], 1
	s_wait_kmcnt 0x0
	s_lshl_b64 s[10:11], s[10:11], 3
	s_branch .LBB7_4
.LBB7_2:                                ;   in Loop: Header=BB7_4 Depth=1
	s_wait_xcnt 0x0
	s_or_b32 exec_lo, exec_lo, s2
.LBB7_3:                                ;   in Loop: Header=BB7_4 Depth=1
	s_add_co_i32 s20, s20, 0x10000
	s_delay_alu instid0(SALU_CYCLE_1)
	s_cmp_lt_u32 s20, s33
	s_cbranch_scc0 .LBB7_36
.LBB7_4:                                ; =>This Loop Header: Depth=1
                                        ;     Child Loop BB7_23 Depth 2
	s_and_not1_b32 vcc_lo, exec_lo, s35
	s_cbranch_vccnz .LBB7_3
; %bb.5:                                ;   in Loop: Header=BB7_4 Depth=1
	s_and_not1_b32 vcc_lo, exec_lo, s37
	s_cbranch_vccnz .LBB7_7
; %bb.6:                                ;   in Loop: Header=BB7_4 Depth=1
	s_mov_b64 s[2:3], 0
	s_mov_b64 s[30:31], 0
	s_cbranch_execz .LBB7_8
	s_branch .LBB7_9
.LBB7_7:                                ;   in Loop: Header=BB7_4 Depth=1
	s_mov_b64 s[2:3], 0
	s_mov_b64 s[30:31], 0
.LBB7_8:                                ;   in Loop: Header=BB7_4 Depth=1
	s_lshl_b64 s[28:29], s[20:21], 3
	s_delay_alu instid0(SALU_CYCLE_1)
	s_add_nc_u64 s[28:29], s[8:9], s[28:29]
	s_load_b64 s[28:29], s[28:29], 0x0
	s_wait_kmcnt 0x0
	s_add_nc_u64 s[30:31], s[28:29], s[10:11]
.LBB7_9:                                ;   in Loop: Header=BB7_4 Depth=1
	v_cmp_ne_u32_e32 vcc_lo, 1, v16
	s_cbranch_vccnz .LBB7_11
; %bb.10:                               ;   in Loop: Header=BB7_4 Depth=1
	s_lshl_b64 s[2:3], s[20:21], 3
	s_delay_alu instid0(SALU_CYCLE_1)
	s_add_nc_u64 s[2:3], s[24:25], s[2:3]
	s_load_b64 s[2:3], s[2:3], 0x0
	s_wait_kmcnt 0x0
	s_wait_xcnt 0x0
	s_add_nc_u64 s[2:3], s[2:3], s[12:13]
.LBB7_11:                               ;   in Loop: Header=BB7_4 Depth=1
	s_wait_xcnt 0x0
	s_lshl_b64 s[28:29], s[20:21], 3
	s_and_not1_b32 vcc_lo, exec_lo, s37
	s_add_nc_u64 s[28:29], s[18:19], s[28:29]
	s_load_b64 s[28:29], s[28:29], 0x0
	s_wait_kmcnt 0x0
	s_wait_xcnt 0x0
	s_add_nc_u64 s[28:29], s[28:29], s[16:17]
	s_cbranch_vccnz .LBB7_15
; %bb.12:                               ;   in Loop: Header=BB7_4 Depth=1
	s_mov_b32 s40, 0
	s_mov_b32 s39, 0
                                        ; implicit-def: $vgpr6_vgpr7
	s_and_saveexec_b32 s41, s36
	s_cbranch_execz .LBB7_16
; %bb.13:                               ;   in Loop: Header=BB7_4 Depth=1
	s_and_not1_b32 vcc_lo, exec_lo, s38
	s_cbranch_vccnz .LBB7_17
; %bb.14:                               ;   in Loop: Header=BB7_4 Depth=1
	v_lshl_add_u64 v[6:7], v[2:3], 3, s[28:29]
	flat_load_b64 v[6:7], v[6:7]
	s_wait_loadcnt_dscnt 0x0
	s_wait_xcnt 0x0
	v_mul_f64_e32 v[6:7], s[22:23], v[6:7]
	s_branch .LBB7_18
.LBB7_15:                               ;   in Loop: Header=BB7_4 Depth=1
	s_mov_b32 s39, 0
                                        ; implicit-def: $vgpr6_vgpr7
	s_cbranch_execnz .LBB7_19
	s_branch .LBB7_34
.LBB7_16:                               ;   in Loop: Header=BB7_4 Depth=1
	s_or_b32 exec_lo, exec_lo, s41
	s_delay_alu instid0(SALU_CYCLE_1)
	s_and_b32 vcc_lo, exec_lo, s40
	s_cbranch_vccnz .LBB7_19
	s_branch .LBB7_34
.LBB7_17:                               ;   in Loop: Header=BB7_4 Depth=1
	v_mov_b64_e32 v[6:7], 0
.LBB7_18:                               ;   in Loop: Header=BB7_4 Depth=1
	s_mov_b32 s39, exec_lo
	s_or_b32 exec_lo, exec_lo, s41
	s_delay_alu instid0(SALU_CYCLE_1)
	s_and_b32 vcc_lo, exec_lo, s40
	s_cbranch_vccz .LBB7_34
.LBB7_19:                               ;   in Loop: Header=BB7_4 Depth=1
	v_mov_b64_e32 v[6:7], 0
	s_and_saveexec_b32 s40, s0
	s_cbranch_execz .LBB7_29
; %bb.20:                               ;   in Loop: Header=BB7_4 Depth=1
	v_add_nc_u64_e32 v[8:9], s[2:3], v[4:5]
	v_mov_b64_e32 v[6:7], 0
	v_mov_b32_e32 v18, v0
	s_mov_b32 s3, 0
	s_branch .LBB7_23
.LBB7_21:                               ;   in Loop: Header=BB7_23 Depth=2
	s_delay_alu instid0(VALU_DEP_1) | instskip(NEXT) | instid1(VALU_DEP_2)
	v_mul_u64_e32 v[10:11], v[14:15], v[10:11]
	v_ashrrev_i32_e32 v13, 31, v12
	s_delay_alu instid0(VALU_DEP_2) | instskip(NEXT) | instid1(VALU_DEP_1)
	v_lshlrev_b64_e32 v[10:11], 2, v[10:11]
	v_and_b32_e32 v10, -8, v10
	s_delay_alu instid0(VALU_DEP_1) | instskip(NEXT) | instid1(VALU_DEP_1)
	v_add_nc_u64_e32 v[10:11], s[30:31], v[10:11]
	v_lshl_add_u64 v[10:11], v[12:13], 3, v[10:11]
	flat_load_b64 v[12:13], v[10:11]
	flat_load_b64 v[14:15], v[8:9]
	s_wait_loadcnt_dscnt 0x0
	v_fmac_f64_e32 v[6:7], v[12:13], v[14:15]
.LBB7_22:                               ;   in Loop: Header=BB7_23 Depth=2
	s_wait_xcnt 0x0
	s_or_b32 exec_lo, exec_lo, s41
	v_add_nc_u32_e32 v18, 16, v18
	v_add_nc_u64_e32 v[8:9], s[14:15], v[8:9]
	s_delay_alu instid0(VALU_DEP_2) | instskip(SKIP_1) | instid1(SALU_CYCLE_1)
	v_cmp_le_i32_e32 vcc_lo, s5, v18
	s_or_b32 s3, vcc_lo, s3
	s_and_not1_b32 exec_lo, exec_lo, s3
	s_cbranch_execz .LBB7_28
.LBB7_23:                               ;   Parent Loop BB7_4 Depth=1
                                        ; =>  This Inner Loop Header: Depth=2
	s_and_saveexec_b32 s41, s1
	s_cbranch_execz .LBB7_22
; %bb.24:                               ;   in Loop: Header=BB7_23 Depth=2
	v_cmp_le_i32_e32 vcc_lo, v1, v18
	v_cmp_ge_i32_e64 s2, v1, v18
                                        ; implicit-def: $vgpr14_vgpr15
                                        ; implicit-def: $vgpr12
	s_or_b32 s42, s34, vcc_lo
	s_or_b32 s2, s4, s2
	s_delay_alu instid0(SALU_CYCLE_1) | instskip(SKIP_3) | instid1(VALU_DEP_1)
	s_and_b32 vcc_lo, s42, s2
	s_mov_b32 s2, -1
	v_dual_cndmask_b32 v13, v18, v1 :: v_dual_cndmask_b32 v10, v1, v18
	s_and_b32 vcc_lo, exec_lo, s34
	v_ashrrev_i32_e32 v11, 31, v10
	s_cbranch_vccz .LBB7_26
; %bb.25:                               ;   in Loop: Header=BB7_23 Depth=2
	s_delay_alu instid0(VALU_DEP_1)
	v_sub_nc_u64_e32 v[14:15], s[26:27], v[10:11]
	v_sub_nc_u32_e32 v12, v13, v10
	s_mov_b32 s2, 0
.LBB7_26:                               ;   in Loop: Header=BB7_23 Depth=2
	s_delay_alu instid0(SALU_CYCLE_1)
	s_and_not1_b32 vcc_lo, exec_lo, s2
	s_cbranch_vccnz .LBB7_21
; %bb.27:                               ;   in Loop: Header=BB7_23 Depth=2
	s_delay_alu instid0(VALU_DEP_1)
	v_add_nc_u64_e32 v[14:15], 1, v[10:11]
	v_mov_b32_e32 v12, v13
	s_branch .LBB7_21
.LBB7_28:                               ;   in Loop: Header=BB7_4 Depth=1
	s_or_b32 exec_lo, exec_lo, s3
.LBB7_29:                               ;   in Loop: Header=BB7_4 Depth=1
	s_delay_alu instid0(SALU_CYCLE_1)
	s_or_b32 exec_lo, exec_lo, s40
	ds_store_b64 v17, v[6:7]
	s_wait_dscnt 0x0
	s_barrier_signal -1
	s_barrier_wait -1
                                        ; implicit-def: $vgpr6_vgpr7
	s_and_saveexec_b32 s2, s36
	s_cbranch_execz .LBB7_33
; %bb.30:                               ;   in Loop: Header=BB7_4 Depth=1
	ds_load_2addr_stride64_b64 v[6:9], v17 offset1:1
	ds_load_2addr_stride64_b64 v[10:13], v17 offset0:2 offset1:3
	s_and_not1_b32 vcc_lo, exec_lo, s38
	s_wait_dscnt 0x1
	v_add_f64_e32 v[6:7], v[6:7], v[8:9]
	s_wait_dscnt 0x0
	s_delay_alu instid0(VALU_DEP_1) | instskip(NEXT) | instid1(VALU_DEP_1)
	v_add_f64_e32 v[6:7], v[10:11], v[6:7]
	v_add_f64_e32 v[14:15], v[12:13], v[6:7]
	ds_load_2addr_stride64_b64 v[6:9], v17 offset0:4 offset1:5
	ds_load_2addr_stride64_b64 v[10:13], v17 offset0:6 offset1:7
	s_wait_dscnt 0x1
	v_add_f64_e32 v[6:7], v[6:7], v[14:15]
	s_delay_alu instid0(VALU_DEP_1) | instskip(SKIP_1) | instid1(VALU_DEP_1)
	v_add_f64_e32 v[6:7], v[8:9], v[6:7]
	s_wait_dscnt 0x0
	v_add_f64_e32 v[6:7], v[10:11], v[6:7]
	s_delay_alu instid0(VALU_DEP_1) | instskip(SKIP_4) | instid1(VALU_DEP_1)
	v_add_f64_e32 v[14:15], v[12:13], v[6:7]
	ds_load_2addr_stride64_b64 v[6:9], v17 offset0:8 offset1:9
	ds_load_2addr_stride64_b64 v[10:13], v17 offset0:10 offset1:11
	s_wait_dscnt 0x1
	v_add_f64_e32 v[6:7], v[6:7], v[14:15]
	v_add_f64_e32 v[6:7], v[8:9], v[6:7]
	s_wait_dscnt 0x0
	s_delay_alu instid0(VALU_DEP_1) | instskip(NEXT) | instid1(VALU_DEP_1)
	v_add_f64_e32 v[6:7], v[10:11], v[6:7]
	v_add_f64_e32 v[14:15], v[12:13], v[6:7]
	ds_load_2addr_stride64_b64 v[6:9], v17 offset0:12 offset1:13
	ds_load_2addr_stride64_b64 v[10:13], v17 offset0:14 offset1:15
	s_wait_dscnt 0x1
	v_add_f64_e32 v[6:7], v[6:7], v[14:15]
	s_delay_alu instid0(VALU_DEP_1) | instskip(SKIP_1) | instid1(VALU_DEP_1)
	v_add_f64_e32 v[6:7], v[8:9], v[6:7]
	s_wait_dscnt 0x0
	v_add_f64_e32 v[6:7], v[10:11], v[6:7]
	s_delay_alu instid0(VALU_DEP_1) | instskip(NEXT) | instid1(VALU_DEP_1)
	v_add_f64_e32 v[8:9], v[12:13], v[6:7]
	v_mul_f64_e32 v[6:7], s[6:7], v[8:9]
	ds_store_b64 v17, v[8:9]
	s_cbranch_vccnz .LBB7_32
; %bb.31:                               ;   in Loop: Header=BB7_4 Depth=1
	v_lshl_add_u64 v[8:9], v[2:3], 3, s[28:29]
	flat_load_b64 v[8:9], v[8:9]
	s_wait_loadcnt_dscnt 0x0
	v_fmac_f64_e32 v[6:7], s[22:23], v[8:9]
.LBB7_32:                               ;   in Loop: Header=BB7_4 Depth=1
	s_or_b32 s39, s39, exec_lo
.LBB7_33:                               ;   in Loop: Header=BB7_4 Depth=1
	s_wait_xcnt 0x0
	s_or_b32 exec_lo, exec_lo, s2
.LBB7_34:                               ;   in Loop: Header=BB7_4 Depth=1
	s_and_saveexec_b32 s2, s39
	s_cbranch_execz .LBB7_2
; %bb.35:                               ;   in Loop: Header=BB7_4 Depth=1
	v_lshl_add_u64 v[8:9], v[2:3], 3, s[28:29]
	flat_store_b64 v[8:9], v[6:7]
	s_branch .LBB7_2
.LBB7_36:
	s_endpgm
	.section	.rodata,"a",@progbits
	.p2align	6, 0x0
	.amdhsa_kernel _ZL19rocblas_spmv_kernelILi64ELi16EdPKPKdPKPdEvbiT1_lT2_llS8_lllS7_lT3_llli
		.amdhsa_group_segment_fixed_size 8192
		.amdhsa_private_segment_fixed_size 0
		.amdhsa_kernarg_size 392
		.amdhsa_user_sgpr_count 2
		.amdhsa_user_sgpr_dispatch_ptr 0
		.amdhsa_user_sgpr_queue_ptr 0
		.amdhsa_user_sgpr_kernarg_segment_ptr 1
		.amdhsa_user_sgpr_dispatch_id 0
		.amdhsa_user_sgpr_kernarg_preload_length 0
		.amdhsa_user_sgpr_kernarg_preload_offset 0
		.amdhsa_user_sgpr_private_segment_size 0
		.amdhsa_wavefront_size32 1
		.amdhsa_uses_dynamic_stack 0
		.amdhsa_enable_private_segment 0
		.amdhsa_system_sgpr_workgroup_id_x 1
		.amdhsa_system_sgpr_workgroup_id_y 0
		.amdhsa_system_sgpr_workgroup_id_z 1
		.amdhsa_system_sgpr_workgroup_info 0
		.amdhsa_system_vgpr_workitem_id 1
		.amdhsa_next_free_vgpr 19
		.amdhsa_next_free_sgpr 43
		.amdhsa_named_barrier_count 0
		.amdhsa_reserve_vcc 1
		.amdhsa_float_round_mode_32 0
		.amdhsa_float_round_mode_16_64 0
		.amdhsa_float_denorm_mode_32 3
		.amdhsa_float_denorm_mode_16_64 3
		.amdhsa_fp16_overflow 0
		.amdhsa_memory_ordered 1
		.amdhsa_forward_progress 1
		.amdhsa_inst_pref_size 11
		.amdhsa_round_robin_scheduling 0
		.amdhsa_exception_fp_ieee_invalid_op 0
		.amdhsa_exception_fp_denorm_src 0
		.amdhsa_exception_fp_ieee_div_zero 0
		.amdhsa_exception_fp_ieee_overflow 0
		.amdhsa_exception_fp_ieee_underflow 0
		.amdhsa_exception_fp_ieee_inexact 0
		.amdhsa_exception_int_div_zero 0
	.end_amdhsa_kernel
	.section	.text._ZL19rocblas_spmv_kernelILi64ELi16EdPKPKdPKPdEvbiT1_lT2_llS8_lllS7_lT3_llli,"axG",@progbits,_ZL19rocblas_spmv_kernelILi64ELi16EdPKPKdPKPdEvbiT1_lT2_llS8_lllS7_lT3_llli,comdat
.Lfunc_end7:
	.size	_ZL19rocblas_spmv_kernelILi64ELi16EdPKPKdPKPdEvbiT1_lT2_llS8_lllS7_lT3_llli, .Lfunc_end7-_ZL19rocblas_spmv_kernelILi64ELi16EdPKPKdPKPdEvbiT1_lT2_llS8_lllS7_lT3_llli
                                        ; -- End function
	.set _ZL19rocblas_spmv_kernelILi64ELi16EdPKPKdPKPdEvbiT1_lT2_llS8_lllS7_lT3_llli.num_vgpr, 19
	.set _ZL19rocblas_spmv_kernelILi64ELi16EdPKPKdPKPdEvbiT1_lT2_llS8_lllS7_lT3_llli.num_agpr, 0
	.set _ZL19rocblas_spmv_kernelILi64ELi16EdPKPKdPKPdEvbiT1_lT2_llS8_lllS7_lT3_llli.numbered_sgpr, 43
	.set _ZL19rocblas_spmv_kernelILi64ELi16EdPKPKdPKPdEvbiT1_lT2_llS8_lllS7_lT3_llli.num_named_barrier, 0
	.set _ZL19rocblas_spmv_kernelILi64ELi16EdPKPKdPKPdEvbiT1_lT2_llS8_lllS7_lT3_llli.private_seg_size, 0
	.set _ZL19rocblas_spmv_kernelILi64ELi16EdPKPKdPKPdEvbiT1_lT2_llS8_lllS7_lT3_llli.uses_vcc, 1
	.set _ZL19rocblas_spmv_kernelILi64ELi16EdPKPKdPKPdEvbiT1_lT2_llS8_lllS7_lT3_llli.uses_flat_scratch, 0
	.set _ZL19rocblas_spmv_kernelILi64ELi16EdPKPKdPKPdEvbiT1_lT2_llS8_lllS7_lT3_llli.has_dyn_sized_stack, 0
	.set _ZL19rocblas_spmv_kernelILi64ELi16EdPKPKdPKPdEvbiT1_lT2_llS8_lllS7_lT3_llli.has_recursion, 0
	.set _ZL19rocblas_spmv_kernelILi64ELi16EdPKPKdPKPdEvbiT1_lT2_llS8_lllS7_lT3_llli.has_indirect_call, 0
	.section	.AMDGPU.csdata,"",@progbits
; Kernel info:
; codeLenInByte = 1304
; TotalNumSgprs: 45
; NumVgprs: 19
; ScratchSize: 0
; MemoryBound: 0
; FloatMode: 240
; IeeeMode: 1
; LDSByteSize: 8192 bytes/workgroup (compile time only)
; SGPRBlocks: 0
; VGPRBlocks: 1
; NumSGPRsForWavesPerEU: 45
; NumVGPRsForWavesPerEU: 19
; NamedBarCnt: 0
; Occupancy: 16
; WaveLimiterHint : 1
; COMPUTE_PGM_RSRC2:SCRATCH_EN: 0
; COMPUTE_PGM_RSRC2:USER_SGPR: 2
; COMPUTE_PGM_RSRC2:TRAP_HANDLER: 0
; COMPUTE_PGM_RSRC2:TGID_X_EN: 1
; COMPUTE_PGM_RSRC2:TGID_Y_EN: 0
; COMPUTE_PGM_RSRC2:TGID_Z_EN: 1
; COMPUTE_PGM_RSRC2:TIDIG_COMP_CNT: 1
	.section	.AMDGPU.gpr_maximums,"",@progbits
	.set amdgpu.max_num_vgpr, 0
	.set amdgpu.max_num_agpr, 0
	.set amdgpu.max_num_sgpr, 0
	.section	.AMDGPU.csdata,"",@progbits
	.type	__hip_cuid_c258a9df70db7c2d,@object ; @__hip_cuid_c258a9df70db7c2d
	.section	.bss,"aw",@nobits
	.globl	__hip_cuid_c258a9df70db7c2d
__hip_cuid_c258a9df70db7c2d:
	.byte	0                               ; 0x0
	.size	__hip_cuid_c258a9df70db7c2d, 1

	.ident	"AMD clang version 22.0.0git (https://github.com/RadeonOpenCompute/llvm-project roc-7.2.4 26084 f58b06dce1f9c15707c5f808fd002e18c2accf7e)"
	.section	".note.GNU-stack","",@progbits
	.addrsig
	.addrsig_sym __hip_cuid_c258a9df70db7c2d
	.amdgpu_metadata
---
amdhsa.kernels:
  - .args:
      - .offset:         0
        .size:           1
        .value_kind:     by_value
      - .offset:         4
        .size:           4
        .value_kind:     by_value
      - .address_space:  global
        .offset:         8
        .size:           8
        .value_kind:     global_buffer
      - .offset:         16
        .size:           8
        .value_kind:     by_value
      - .actual_access:  read_only
        .address_space:  global
        .offset:         24
        .size:           8
        .value_kind:     global_buffer
      - .offset:         32
        .size:           8
        .value_kind:     by_value
      - .offset:         40
        .size:           8
        .value_kind:     by_value
      - .actual_access:  read_only
        .address_space:  global
        .offset:         48
        .size:           8
        .value_kind:     global_buffer
      - .offset:         56
        .size:           8
        .value_kind:     by_value
      - .offset:         64
        .size:           8
        .value_kind:     by_value
      - .offset:         72
        .size:           8
        .value_kind:     by_value
      - .address_space:  global
        .offset:         80
        .size:           8
        .value_kind:     global_buffer
      - .offset:         88
        .size:           8
        .value_kind:     by_value
      - .address_space:  global
        .offset:         96
        .size:           8
        .value_kind:     global_buffer
      - .offset:         104
        .size:           8
        .value_kind:     by_value
      - .offset:         112
        .size:           8
        .value_kind:     by_value
      - .offset:         120
        .size:           8
        .value_kind:     by_value
      - .offset:         128
        .size:           4
        .value_kind:     by_value
      - .offset:         136
        .size:           4
        .value_kind:     hidden_block_count_x
      - .offset:         140
        .size:           4
        .value_kind:     hidden_block_count_y
      - .offset:         144
        .size:           4
        .value_kind:     hidden_block_count_z
      - .offset:         148
        .size:           2
        .value_kind:     hidden_group_size_x
      - .offset:         150
        .size:           2
        .value_kind:     hidden_group_size_y
      - .offset:         152
        .size:           2
        .value_kind:     hidden_group_size_z
      - .offset:         154
        .size:           2
        .value_kind:     hidden_remainder_x
      - .offset:         156
        .size:           2
        .value_kind:     hidden_remainder_y
      - .offset:         158
        .size:           2
        .value_kind:     hidden_remainder_z
      - .offset:         176
        .size:           8
        .value_kind:     hidden_global_offset_x
      - .offset:         184
        .size:           8
        .value_kind:     hidden_global_offset_y
      - .offset:         192
        .size:           8
        .value_kind:     hidden_global_offset_z
      - .offset:         200
        .size:           2
        .value_kind:     hidden_grid_dims
    .group_segment_fixed_size: 4096
    .kernarg_segment_align: 8
    .kernarg_segment_size: 392
    .language:       OpenCL C
    .language_version:
      - 2
      - 0
    .max_flat_workgroup_size: 1024
    .name:           _ZL19rocblas_spmv_kernelILi64ELi16EPKfS1_PfEvbiT1_lT2_llS4_lllS3_lT3_llli
    .private_segment_fixed_size: 0
    .sgpr_count:     45
    .sgpr_spill_count: 0
    .symbol:         _ZL19rocblas_spmv_kernelILi64ELi16EPKfS1_PfEvbiT1_lT2_llS4_lllS3_lT3_llli.kd
    .uniform_work_group_size: 1
    .uses_dynamic_stack: false
    .vgpr_count:     19
    .vgpr_spill_count: 0
    .wavefront_size: 32
  - .args:
      - .offset:         0
        .size:           1
        .value_kind:     by_value
      - .offset:         4
        .size:           4
        .value_kind:     by_value
      - .offset:         8
        .size:           4
        .value_kind:     by_value
      - .offset:         16
        .size:           8
        .value_kind:     by_value
      - .actual_access:  read_only
        .address_space:  global
        .offset:         24
        .size:           8
        .value_kind:     global_buffer
      - .offset:         32
        .size:           8
        .value_kind:     by_value
      - .offset:         40
        .size:           8
        .value_kind:     by_value
      - .actual_access:  read_only
        .address_space:  global
        .offset:         48
        .size:           8
        .value_kind:     global_buffer
      - .offset:         56
        .size:           8
        .value_kind:     by_value
      - .offset:         64
        .size:           8
        .value_kind:     by_value
      - .offset:         72
        .size:           8
        .value_kind:     by_value
      - .offset:         80
        .size:           4
        .value_kind:     by_value
      - .offset:         88
        .size:           8
        .value_kind:     by_value
      - .address_space:  global
        .offset:         96
        .size:           8
        .value_kind:     global_buffer
      - .offset:         104
        .size:           8
        .value_kind:     by_value
      - .offset:         112
        .size:           8
        .value_kind:     by_value
      - .offset:         120
        .size:           8
        .value_kind:     by_value
      - .offset:         128
        .size:           4
        .value_kind:     by_value
      - .offset:         136
        .size:           4
        .value_kind:     hidden_block_count_x
      - .offset:         140
        .size:           4
        .value_kind:     hidden_block_count_y
      - .offset:         144
        .size:           4
        .value_kind:     hidden_block_count_z
      - .offset:         148
        .size:           2
        .value_kind:     hidden_group_size_x
      - .offset:         150
        .size:           2
        .value_kind:     hidden_group_size_y
      - .offset:         152
        .size:           2
        .value_kind:     hidden_group_size_z
      - .offset:         154
        .size:           2
        .value_kind:     hidden_remainder_x
      - .offset:         156
        .size:           2
        .value_kind:     hidden_remainder_y
      - .offset:         158
        .size:           2
        .value_kind:     hidden_remainder_z
      - .offset:         176
        .size:           8
        .value_kind:     hidden_global_offset_x
      - .offset:         184
        .size:           8
        .value_kind:     hidden_global_offset_y
      - .offset:         192
        .size:           8
        .value_kind:     hidden_global_offset_z
      - .offset:         200
        .size:           2
        .value_kind:     hidden_grid_dims
    .group_segment_fixed_size: 4096
    .kernarg_segment_align: 8
    .kernarg_segment_size: 392
    .language:       OpenCL C
    .language_version:
      - 2
      - 0
    .max_flat_workgroup_size: 1024
    .name:           _ZL19rocblas_spmv_kernelILi64ELi16EfPKfPfEvbiT1_lT2_llS4_lllS3_lT3_llli
    .private_segment_fixed_size: 0
    .sgpr_count:     41
    .sgpr_spill_count: 0
    .symbol:         _ZL19rocblas_spmv_kernelILi64ELi16EfPKfPfEvbiT1_lT2_llS4_lllS3_lT3_llli.kd
    .uniform_work_group_size: 1
    .uses_dynamic_stack: false
    .vgpr_count:     17
    .vgpr_spill_count: 0
    .wavefront_size: 32
  - .args:
      - .offset:         0
        .size:           1
        .value_kind:     by_value
      - .offset:         4
        .size:           4
        .value_kind:     by_value
      - .address_space:  global
        .offset:         8
        .size:           8
        .value_kind:     global_buffer
      - .offset:         16
        .size:           8
        .value_kind:     by_value
      - .actual_access:  read_only
        .address_space:  global
        .offset:         24
        .size:           8
        .value_kind:     global_buffer
      - .offset:         32
        .size:           8
        .value_kind:     by_value
      - .offset:         40
        .size:           8
        .value_kind:     by_value
      - .actual_access:  read_only
        .address_space:  global
        .offset:         48
        .size:           8
        .value_kind:     global_buffer
      - .offset:         56
        .size:           8
        .value_kind:     by_value
      - .offset:         64
        .size:           8
        .value_kind:     by_value
      - .offset:         72
        .size:           8
        .value_kind:     by_value
      - .address_space:  global
        .offset:         80
        .size:           8
        .value_kind:     global_buffer
      - .offset:         88
        .size:           8
        .value_kind:     by_value
      - .address_space:  global
        .offset:         96
        .size:           8
        .value_kind:     global_buffer
      - .offset:         104
        .size:           8
        .value_kind:     by_value
      - .offset:         112
        .size:           8
        .value_kind:     by_value
      - .offset:         120
        .size:           8
        .value_kind:     by_value
      - .offset:         128
        .size:           4
        .value_kind:     by_value
      - .offset:         136
        .size:           4
        .value_kind:     hidden_block_count_x
      - .offset:         140
        .size:           4
        .value_kind:     hidden_block_count_y
      - .offset:         144
        .size:           4
        .value_kind:     hidden_block_count_z
      - .offset:         148
        .size:           2
        .value_kind:     hidden_group_size_x
      - .offset:         150
        .size:           2
        .value_kind:     hidden_group_size_y
      - .offset:         152
        .size:           2
        .value_kind:     hidden_group_size_z
      - .offset:         154
        .size:           2
        .value_kind:     hidden_remainder_x
      - .offset:         156
        .size:           2
        .value_kind:     hidden_remainder_y
      - .offset:         158
        .size:           2
        .value_kind:     hidden_remainder_z
      - .offset:         176
        .size:           8
        .value_kind:     hidden_global_offset_x
      - .offset:         184
        .size:           8
        .value_kind:     hidden_global_offset_y
      - .offset:         192
        .size:           8
        .value_kind:     hidden_global_offset_z
      - .offset:         200
        .size:           2
        .value_kind:     hidden_grid_dims
    .group_segment_fixed_size: 8192
    .kernarg_segment_align: 8
    .kernarg_segment_size: 392
    .language:       OpenCL C
    .language_version:
      - 2
      - 0
    .max_flat_workgroup_size: 1024
    .name:           _ZL19rocblas_spmv_kernelILi64ELi16EPKdS1_PdEvbiT1_lT2_llS4_lllS3_lT3_llli
    .private_segment_fixed_size: 0
    .sgpr_count:     44
    .sgpr_spill_count: 0
    .symbol:         _ZL19rocblas_spmv_kernelILi64ELi16EPKdS1_PdEvbiT1_lT2_llS4_lllS3_lT3_llli.kd
    .uniform_work_group_size: 1
    .uses_dynamic_stack: false
    .vgpr_count:     23
    .vgpr_spill_count: 0
    .wavefront_size: 32
  - .args:
      - .offset:         0
        .size:           1
        .value_kind:     by_value
      - .offset:         4
        .size:           4
        .value_kind:     by_value
      - .offset:         8
        .size:           8
        .value_kind:     by_value
      - .offset:         16
        .size:           8
        .value_kind:     by_value
      - .actual_access:  read_only
        .address_space:  global
        .offset:         24
        .size:           8
        .value_kind:     global_buffer
      - .offset:         32
        .size:           8
        .value_kind:     by_value
      - .offset:         40
        .size:           8
        .value_kind:     by_value
      - .actual_access:  read_only
        .address_space:  global
        .offset:         48
        .size:           8
        .value_kind:     global_buffer
      - .offset:         56
        .size:           8
        .value_kind:     by_value
      - .offset:         64
        .size:           8
        .value_kind:     by_value
      - .offset:         72
        .size:           8
        .value_kind:     by_value
      - .offset:         80
        .size:           8
        .value_kind:     by_value
      - .offset:         88
        .size:           8
        .value_kind:     by_value
      - .address_space:  global
        .offset:         96
        .size:           8
        .value_kind:     global_buffer
      - .offset:         104
        .size:           8
        .value_kind:     by_value
      - .offset:         112
        .size:           8
        .value_kind:     by_value
      - .offset:         120
        .size:           8
        .value_kind:     by_value
      - .offset:         128
        .size:           4
        .value_kind:     by_value
      - .offset:         136
        .size:           4
        .value_kind:     hidden_block_count_x
      - .offset:         140
        .size:           4
        .value_kind:     hidden_block_count_y
      - .offset:         144
        .size:           4
        .value_kind:     hidden_block_count_z
      - .offset:         148
        .size:           2
        .value_kind:     hidden_group_size_x
      - .offset:         150
        .size:           2
        .value_kind:     hidden_group_size_y
      - .offset:         152
        .size:           2
        .value_kind:     hidden_group_size_z
      - .offset:         154
        .size:           2
        .value_kind:     hidden_remainder_x
      - .offset:         156
        .size:           2
        .value_kind:     hidden_remainder_y
      - .offset:         158
        .size:           2
        .value_kind:     hidden_remainder_z
      - .offset:         176
        .size:           8
        .value_kind:     hidden_global_offset_x
      - .offset:         184
        .size:           8
        .value_kind:     hidden_global_offset_y
      - .offset:         192
        .size:           8
        .value_kind:     hidden_global_offset_z
      - .offset:         200
        .size:           2
        .value_kind:     hidden_grid_dims
    .group_segment_fixed_size: 8192
    .kernarg_segment_align: 8
    .kernarg_segment_size: 392
    .language:       OpenCL C
    .language_version:
      - 2
      - 0
    .max_flat_workgroup_size: 1024
    .name:           _ZL19rocblas_spmv_kernelILi64ELi16EdPKdPdEvbiT1_lT2_llS4_lllS3_lT3_llli
    .private_segment_fixed_size: 0
    .sgpr_count:     43
    .sgpr_spill_count: 0
    .symbol:         _ZL19rocblas_spmv_kernelILi64ELi16EdPKdPdEvbiT1_lT2_llS4_lllS3_lT3_llli.kd
    .uniform_work_group_size: 1
    .uses_dynamic_stack: false
    .vgpr_count:     18
    .vgpr_spill_count: 0
    .wavefront_size: 32
  - .args:
      - .offset:         0
        .size:           1
        .value_kind:     by_value
      - .offset:         4
        .size:           4
        .value_kind:     by_value
      - .address_space:  global
        .offset:         8
        .size:           8
        .value_kind:     global_buffer
      - .offset:         16
        .size:           8
        .value_kind:     by_value
      - .actual_access:  read_only
        .address_space:  global
        .offset:         24
        .size:           8
        .value_kind:     global_buffer
      - .offset:         32
        .size:           8
        .value_kind:     by_value
      - .offset:         40
        .size:           8
        .value_kind:     by_value
      - .actual_access:  read_only
        .address_space:  global
        .offset:         48
        .size:           8
        .value_kind:     global_buffer
      - .offset:         56
        .size:           8
        .value_kind:     by_value
      - .offset:         64
        .size:           8
        .value_kind:     by_value
      - .offset:         72
        .size:           8
        .value_kind:     by_value
      - .address_space:  global
        .offset:         80
        .size:           8
        .value_kind:     global_buffer
      - .offset:         88
        .size:           8
        .value_kind:     by_value
      - .actual_access:  read_only
        .address_space:  global
        .offset:         96
        .size:           8
        .value_kind:     global_buffer
      - .offset:         104
        .size:           8
        .value_kind:     by_value
      - .offset:         112
        .size:           8
        .value_kind:     by_value
      - .offset:         120
        .size:           8
        .value_kind:     by_value
      - .offset:         128
        .size:           4
        .value_kind:     by_value
      - .offset:         136
        .size:           4
        .value_kind:     hidden_block_count_x
      - .offset:         140
        .size:           4
        .value_kind:     hidden_block_count_y
      - .offset:         144
        .size:           4
        .value_kind:     hidden_block_count_z
      - .offset:         148
        .size:           2
        .value_kind:     hidden_group_size_x
      - .offset:         150
        .size:           2
        .value_kind:     hidden_group_size_y
      - .offset:         152
        .size:           2
        .value_kind:     hidden_group_size_z
      - .offset:         154
        .size:           2
        .value_kind:     hidden_remainder_x
      - .offset:         156
        .size:           2
        .value_kind:     hidden_remainder_y
      - .offset:         158
        .size:           2
        .value_kind:     hidden_remainder_z
      - .offset:         176
        .size:           8
        .value_kind:     hidden_global_offset_x
      - .offset:         184
        .size:           8
        .value_kind:     hidden_global_offset_y
      - .offset:         192
        .size:           8
        .value_kind:     hidden_global_offset_z
      - .offset:         200
        .size:           2
        .value_kind:     hidden_grid_dims
    .group_segment_fixed_size: 4096
    .kernarg_segment_align: 8
    .kernarg_segment_size: 392
    .language:       OpenCL C
    .language_version:
      - 2
      - 0
    .max_flat_workgroup_size: 1024
    .name:           _ZL19rocblas_spmv_kernelILi64ELi16EPKfPKS1_PKPfEvbiT1_lT2_llS8_lllS7_lT3_llli
    .private_segment_fixed_size: 0
    .sgpr_count:     47
    .sgpr_spill_count: 0
    .symbol:         _ZL19rocblas_spmv_kernelILi64ELi16EPKfPKS1_PKPfEvbiT1_lT2_llS8_lllS7_lT3_llli.kd
    .uniform_work_group_size: 1
    .uses_dynamic_stack: false
    .vgpr_count:     19
    .vgpr_spill_count: 0
    .wavefront_size: 32
  - .args:
      - .offset:         0
        .size:           1
        .value_kind:     by_value
      - .offset:         4
        .size:           4
        .value_kind:     by_value
      - .offset:         8
        .size:           4
        .value_kind:     by_value
      - .offset:         16
        .size:           8
        .value_kind:     by_value
      - .actual_access:  read_only
        .address_space:  global
        .offset:         24
        .size:           8
        .value_kind:     global_buffer
      - .offset:         32
        .size:           8
        .value_kind:     by_value
      - .offset:         40
        .size:           8
        .value_kind:     by_value
      - .actual_access:  read_only
        .address_space:  global
        .offset:         48
        .size:           8
        .value_kind:     global_buffer
      - .offset:         56
        .size:           8
        .value_kind:     by_value
      - .offset:         64
        .size:           8
        .value_kind:     by_value
      - .offset:         72
        .size:           8
        .value_kind:     by_value
      - .offset:         80
        .size:           4
        .value_kind:     by_value
      - .offset:         88
        .size:           8
        .value_kind:     by_value
      - .actual_access:  read_only
        .address_space:  global
        .offset:         96
        .size:           8
        .value_kind:     global_buffer
      - .offset:         104
        .size:           8
        .value_kind:     by_value
      - .offset:         112
        .size:           8
        .value_kind:     by_value
      - .offset:         120
        .size:           8
        .value_kind:     by_value
      - .offset:         128
        .size:           4
        .value_kind:     by_value
      - .offset:         136
        .size:           4
        .value_kind:     hidden_block_count_x
      - .offset:         140
        .size:           4
        .value_kind:     hidden_block_count_y
      - .offset:         144
        .size:           4
        .value_kind:     hidden_block_count_z
      - .offset:         148
        .size:           2
        .value_kind:     hidden_group_size_x
      - .offset:         150
        .size:           2
        .value_kind:     hidden_group_size_y
      - .offset:         152
        .size:           2
        .value_kind:     hidden_group_size_z
      - .offset:         154
        .size:           2
        .value_kind:     hidden_remainder_x
      - .offset:         156
        .size:           2
        .value_kind:     hidden_remainder_y
      - .offset:         158
        .size:           2
        .value_kind:     hidden_remainder_z
      - .offset:         176
        .size:           8
        .value_kind:     hidden_global_offset_x
      - .offset:         184
        .size:           8
        .value_kind:     hidden_global_offset_y
      - .offset:         192
        .size:           8
        .value_kind:     hidden_global_offset_z
      - .offset:         200
        .size:           2
        .value_kind:     hidden_grid_dims
    .group_segment_fixed_size: 4096
    .kernarg_segment_align: 8
    .kernarg_segment_size: 392
    .language:       OpenCL C
    .language_version:
      - 2
      - 0
    .max_flat_workgroup_size: 1024
    .name:           _ZL19rocblas_spmv_kernelILi64ELi16EfPKPKfPKPfEvbiT1_lT2_llS8_lllS7_lT3_llli
    .private_segment_fixed_size: 0
    .sgpr_count:     43
    .sgpr_spill_count: 0
    .symbol:         _ZL19rocblas_spmv_kernelILi64ELi16EfPKPKfPKPfEvbiT1_lT2_llS8_lllS7_lT3_llli.kd
    .uniform_work_group_size: 1
    .uses_dynamic_stack: false
    .vgpr_count:     18
    .vgpr_spill_count: 0
    .wavefront_size: 32
  - .args:
      - .offset:         0
        .size:           1
        .value_kind:     by_value
      - .offset:         4
        .size:           4
        .value_kind:     by_value
      - .address_space:  global
        .offset:         8
        .size:           8
        .value_kind:     global_buffer
      - .offset:         16
        .size:           8
        .value_kind:     by_value
      - .actual_access:  read_only
        .address_space:  global
        .offset:         24
        .size:           8
        .value_kind:     global_buffer
      - .offset:         32
        .size:           8
        .value_kind:     by_value
      - .offset:         40
        .size:           8
        .value_kind:     by_value
      - .actual_access:  read_only
        .address_space:  global
        .offset:         48
        .size:           8
        .value_kind:     global_buffer
      - .offset:         56
        .size:           8
        .value_kind:     by_value
      - .offset:         64
        .size:           8
        .value_kind:     by_value
      - .offset:         72
        .size:           8
        .value_kind:     by_value
      - .address_space:  global
        .offset:         80
        .size:           8
        .value_kind:     global_buffer
      - .offset:         88
        .size:           8
        .value_kind:     by_value
      - .actual_access:  read_only
        .address_space:  global
        .offset:         96
        .size:           8
        .value_kind:     global_buffer
      - .offset:         104
        .size:           8
        .value_kind:     by_value
      - .offset:         112
        .size:           8
        .value_kind:     by_value
      - .offset:         120
        .size:           8
        .value_kind:     by_value
      - .offset:         128
        .size:           4
        .value_kind:     by_value
      - .offset:         136
        .size:           4
        .value_kind:     hidden_block_count_x
      - .offset:         140
        .size:           4
        .value_kind:     hidden_block_count_y
      - .offset:         144
        .size:           4
        .value_kind:     hidden_block_count_z
      - .offset:         148
        .size:           2
        .value_kind:     hidden_group_size_x
      - .offset:         150
        .size:           2
        .value_kind:     hidden_group_size_y
      - .offset:         152
        .size:           2
        .value_kind:     hidden_group_size_z
      - .offset:         154
        .size:           2
        .value_kind:     hidden_remainder_x
      - .offset:         156
        .size:           2
        .value_kind:     hidden_remainder_y
      - .offset:         158
        .size:           2
        .value_kind:     hidden_remainder_z
      - .offset:         176
        .size:           8
        .value_kind:     hidden_global_offset_x
      - .offset:         184
        .size:           8
        .value_kind:     hidden_global_offset_y
      - .offset:         192
        .size:           8
        .value_kind:     hidden_global_offset_z
      - .offset:         200
        .size:           2
        .value_kind:     hidden_grid_dims
    .group_segment_fixed_size: 8192
    .kernarg_segment_align: 8
    .kernarg_segment_size: 392
    .language:       OpenCL C
    .language_version:
      - 2
      - 0
    .max_flat_workgroup_size: 1024
    .name:           _ZL19rocblas_spmv_kernelILi64ELi16EPKdPKS1_PKPdEvbiT1_lT2_llS8_lllS7_lT3_llli
    .private_segment_fixed_size: 0
    .sgpr_count:     46
    .sgpr_spill_count: 0
    .symbol:         _ZL19rocblas_spmv_kernelILi64ELi16EPKdPKS1_PKPdEvbiT1_lT2_llS8_lllS7_lT3_llli.kd
    .uniform_work_group_size: 1
    .uses_dynamic_stack: false
    .vgpr_count:     23
    .vgpr_spill_count: 0
    .wavefront_size: 32
  - .args:
      - .offset:         0
        .size:           1
        .value_kind:     by_value
      - .offset:         4
        .size:           4
        .value_kind:     by_value
      - .offset:         8
        .size:           8
        .value_kind:     by_value
      - .offset:         16
        .size:           8
        .value_kind:     by_value
      - .actual_access:  read_only
        .address_space:  global
        .offset:         24
        .size:           8
        .value_kind:     global_buffer
      - .offset:         32
        .size:           8
        .value_kind:     by_value
      - .offset:         40
        .size:           8
        .value_kind:     by_value
      - .actual_access:  read_only
        .address_space:  global
        .offset:         48
        .size:           8
        .value_kind:     global_buffer
      - .offset:         56
        .size:           8
        .value_kind:     by_value
      - .offset:         64
        .size:           8
        .value_kind:     by_value
      - .offset:         72
        .size:           8
        .value_kind:     by_value
      - .offset:         80
        .size:           8
        .value_kind:     by_value
      - .offset:         88
        .size:           8
        .value_kind:     by_value
      - .actual_access:  read_only
        .address_space:  global
        .offset:         96
        .size:           8
        .value_kind:     global_buffer
      - .offset:         104
        .size:           8
        .value_kind:     by_value
      - .offset:         112
        .size:           8
        .value_kind:     by_value
      - .offset:         120
        .size:           8
        .value_kind:     by_value
      - .offset:         128
        .size:           4
        .value_kind:     by_value
      - .offset:         136
        .size:           4
        .value_kind:     hidden_block_count_x
      - .offset:         140
        .size:           4
        .value_kind:     hidden_block_count_y
      - .offset:         144
        .size:           4
        .value_kind:     hidden_block_count_z
      - .offset:         148
        .size:           2
        .value_kind:     hidden_group_size_x
      - .offset:         150
        .size:           2
        .value_kind:     hidden_group_size_y
      - .offset:         152
        .size:           2
        .value_kind:     hidden_group_size_z
      - .offset:         154
        .size:           2
        .value_kind:     hidden_remainder_x
      - .offset:         156
        .size:           2
        .value_kind:     hidden_remainder_y
      - .offset:         158
        .size:           2
        .value_kind:     hidden_remainder_z
      - .offset:         176
        .size:           8
        .value_kind:     hidden_global_offset_x
      - .offset:         184
        .size:           8
        .value_kind:     hidden_global_offset_y
      - .offset:         192
        .size:           8
        .value_kind:     hidden_global_offset_z
      - .offset:         200
        .size:           2
        .value_kind:     hidden_grid_dims
    .group_segment_fixed_size: 8192
    .kernarg_segment_align: 8
    .kernarg_segment_size: 392
    .language:       OpenCL C
    .language_version:
      - 2
      - 0
    .max_flat_workgroup_size: 1024
    .name:           _ZL19rocblas_spmv_kernelILi64ELi16EdPKPKdPKPdEvbiT1_lT2_llS8_lllS7_lT3_llli
    .private_segment_fixed_size: 0
    .sgpr_count:     45
    .sgpr_spill_count: 0
    .symbol:         _ZL19rocblas_spmv_kernelILi64ELi16EdPKPKdPKPdEvbiT1_lT2_llS8_lllS7_lT3_llli.kd
    .uniform_work_group_size: 1
    .uses_dynamic_stack: false
    .vgpr_count:     19
    .vgpr_spill_count: 0
    .wavefront_size: 32
amdhsa.target:   amdgcn-amd-amdhsa--gfx1250
amdhsa.version:
  - 1
  - 2
...

	.end_amdgpu_metadata
